;; amdgpu-corpus repo=ROCm/rocFFT kind=compiled arch=gfx906 opt=O3
	.text
	.amdgcn_target "amdgcn-amd-amdhsa--gfx906"
	.amdhsa_code_object_version 6
	.protected	bluestein_single_fwd_len1452_dim1_sp_op_CI_CI ; -- Begin function bluestein_single_fwd_len1452_dim1_sp_op_CI_CI
	.globl	bluestein_single_fwd_len1452_dim1_sp_op_CI_CI
	.p2align	8
	.type	bluestein_single_fwd_len1452_dim1_sp_op_CI_CI,@function
bluestein_single_fwd_len1452_dim1_sp_op_CI_CI: ; @bluestein_single_fwd_len1452_dim1_sp_op_CI_CI
; %bb.0:
	s_load_dwordx4 s[8:11], s[4:5], 0x28
	v_mul_u32_u24_e32 v1, 0x1f1, v0
	v_add_u32_sdwa v72, s6, v1 dst_sel:DWORD dst_unused:UNUSED_PAD src0_sel:DWORD src1_sel:WORD_1
	v_mov_b32_e32 v73, 0
	s_waitcnt lgkmcnt(0)
	v_cmp_gt_u64_e32 vcc, s[8:9], v[72:73]
	s_and_saveexec_b64 s[0:1], vcc
	s_cbranch_execz .LBB0_18
; %bb.1:
	s_load_dwordx4 s[0:3], s[4:5], 0x18
	s_load_dwordx4 s[12:15], s[4:5], 0x0
	s_movk_i32 s8, 0x1000
	s_waitcnt lgkmcnt(0)
	s_load_dwordx4 s[16:19], s[0:1], 0x0
	s_movk_i32 s0, 0x84
	v_mul_lo_u16_sdwa v1, v1, s0 dst_sel:DWORD dst_unused:UNUSED_PAD src0_sel:WORD_1 src1_sel:DWORD
	v_sub_u16_e32 v102, v0, v1
	v_lshlrev_b32_e32 v101, 3, v102
	s_waitcnt lgkmcnt(0)
	v_mad_u64_u32 v[0:1], s[0:1], s18, v72, 0
	v_mad_u64_u32 v[2:3], s[0:1], s16, v102, 0
	s_mul_i32 s6, s17, 0x420
	s_mul_hi_u32 s7, s16, 0x420
	v_mad_u64_u32 v[4:5], s[0:1], s19, v72, v[1:2]
	s_add_i32 s6, s7, s6
	s_mul_i32 s7, s16, 0x420
	v_mad_u64_u32 v[5:6], s[0:1], s17, v102, v[3:4]
	v_mov_b32_e32 v1, v4
	v_lshlrev_b64 v[0:1], 3, v[0:1]
	v_mov_b32_e32 v6, s11
	v_mov_b32_e32 v3, v5
	v_add_co_u32_e32 v4, vcc, s10, v0
	v_addc_co_u32_e32 v5, vcc, v6, v1, vcc
	v_lshlrev_b64 v[0:1], 3, v[2:3]
	v_mov_b32_e32 v2, s13
	v_add_co_u32_e32 v0, vcc, v4, v0
	v_add_co_u32_e64 v103, s[0:1], s12, v101
	v_addc_co_u32_e32 v1, vcc, v5, v1, vcc
	v_addc_co_u32_e64 v21, vcc, 0, v2, s[0:1]
	v_mov_b32_e32 v3, s6
	v_add_co_u32_e32 v2, vcc, s7, v0
	v_addc_co_u32_e32 v3, vcc, v1, v3, vcc
	v_mov_b32_e32 v5, s6
	v_add_co_u32_e32 v4, vcc, s7, v2
	v_addc_co_u32_e32 v5, vcc, v3, v5, vcc
	;; [unrolled: 3-line block ×3, first 2 shown]
	global_load_dwordx2 v[8:9], v[0:1], off
	global_load_dwordx2 v[10:11], v[2:3], off
	;; [unrolled: 1-line block ×4, first 2 shown]
	global_load_dwordx2 v[85:86], v101, s[12:13]
	global_load_dwordx2 v[83:84], v101, s[12:13] offset:1056
	global_load_dwordx2 v[79:80], v101, s[12:13] offset:2112
	;; [unrolled: 1-line block ×3, first 2 shown]
	v_mov_b32_e32 v1, s6
	v_add_co_u32_e32 v0, vcc, s7, v6
	v_addc_co_u32_e32 v1, vcc, v7, v1, vcc
	v_add_co_u32_e32 v4, vcc, s8, v103
	v_addc_co_u32_e32 v5, vcc, 0, v21, vcc
	global_load_dwordx2 v[2:3], v[0:1], off
	v_mov_b32_e32 v6, s6
	v_add_co_u32_e32 v0, vcc, s7, v0
	v_addc_co_u32_e32 v1, vcc, v1, v6, vcc
	global_load_dwordx2 v[6:7], v[0:1], off
	v_mov_b32_e32 v16, s6
	;; [unrolled: 4-line block ×3, first 2 shown]
	v_add_co_u32_e32 v0, vcc, s7, v0
	v_addc_co_u32_e32 v1, vcc, v1, v18, vcc
	global_load_dwordx2 v[81:82], v[4:5], off offset:128
	global_load_dwordx2 v[18:19], v[0:1], off
	global_load_dwordx2 v[77:78], v[4:5], off offset:1184
	global_load_dwordx2 v[73:74], v[4:5], off offset:2240
	global_load_dwordx2 v[70:71], v[4:5], off offset:3296
	v_mov_b32_e32 v4, s6
	v_add_co_u32_e32 v0, vcc, s7, v0
	v_addc_co_u32_e32 v1, vcc, v1, v4, vcc
	s_movk_i32 s8, 0x2000
	v_add_co_u32_e32 v20, vcc, s8, v103
	v_addc_co_u32_e32 v21, vcc, 0, v21, vcc
	global_load_dwordx2 v[4:5], v[0:1], off
	v_mov_b32_e32 v22, s6
	v_add_co_u32_e32 v0, vcc, s7, v0
	global_load_dwordx2 v[68:69], v[20:21], off offset:256
	v_addc_co_u32_e32 v1, vcc, v1, v22, vcc
	global_load_dwordx2 v[22:23], v[0:1], off
	global_load_dwordx2 v[66:67], v[20:21], off offset:1312
	v_mov_b32_e32 v24, s6
	v_add_co_u32_e32 v0, vcc, s7, v0
	v_addc_co_u32_e32 v1, vcc, v1, v24, vcc
	global_load_dwordx2 v[24:25], v[0:1], off
	global_load_dwordx2 v[64:65], v[20:21], off offset:2368
	s_load_dwordx4 s[8:11], s[2:3], 0x0
	s_mov_b32 s16, 0x3f575c64
	s_mov_b32 s3, 0x3ed4b147
	;; [unrolled: 1-line block ×5, first 2 shown]
	s_load_dwordx2 s[6:7], s[4:5], 0x38
	s_waitcnt vmcnt(17)
	v_mul_f32_e32 v0, v9, v86
	v_mul_f32_e32 v1, v8, v86
	v_fmac_f32_e32 v0, v8, v85
	v_fma_f32 v1, v9, v85, -v1
	s_waitcnt vmcnt(16)
	v_mul_f32_e32 v8, v11, v84
	v_mul_f32_e32 v9, v10, v84
	v_fmac_f32_e32 v8, v10, v83
	v_fma_f32 v9, v11, v83, -v9
	ds_write2_b64 v101, v[0:1], v[8:9] offset1:132
	s_waitcnt vmcnt(15)
	v_mul_f32_e32 v0, v12, v80
	v_mul_f32_e32 v8, v13, v80
	v_fma_f32 v9, v13, v79, -v0
	s_waitcnt vmcnt(14)
	v_mul_f32_e32 v10, v15, v76
	v_mul_f32_e32 v0, v14, v76
	v_fmac_f32_e32 v8, v12, v79
	v_fmac_f32_e32 v10, v14, v75
	v_fma_f32 v11, v15, v75, -v0
	v_add_u32_e32 v0, 0x800, v101
	ds_write2_b64 v0, v[8:9], v[10:11] offset0:8 offset1:140
	v_add_u32_e32 v14, 0x1800, v101
	s_waitcnt vmcnt(10)
	v_mul_f32_e32 v8, v3, v82
	v_mul_f32_e32 v1, v2, v82
	v_fmac_f32_e32 v8, v2, v81
	v_fma_f32 v9, v3, v81, -v1
	s_waitcnt vmcnt(8)
	v_mul_f32_e32 v2, v7, v78
	v_mul_f32_e32 v1, v6, v78
	v_fmac_f32_e32 v2, v6, v77
	v_fma_f32 v3, v7, v77, -v1
	v_add_u32_e32 v1, 0x1000, v101
	ds_write2_b64 v1, v[8:9], v[2:3] offset0:16 offset1:148
	s_waitcnt vmcnt(7)
	v_mul_f32_e32 v2, v17, v74
	v_mul_f32_e32 v3, v16, v74
	s_waitcnt vmcnt(6)
	v_mul_f32_e32 v6, v19, v71
	v_mul_f32_e32 v7, v18, v71
	v_fmac_f32_e32 v2, v16, v73
	v_fma_f32 v3, v17, v73, -v3
	v_fmac_f32_e32 v6, v18, v70
	v_fma_f32 v7, v19, v70, -v7
	ds_write2_b64 v14, v[2:3], v[6:7] offset0:24 offset1:156
	s_waitcnt vmcnt(4)
	v_mul_f32_e32 v2, v5, v69
	v_mul_f32_e32 v3, v4, v69
	v_fmac_f32_e32 v2, v4, v68
	v_fma_f32 v3, v5, v68, -v3
	s_waitcnt vmcnt(2)
	v_mul_f32_e32 v4, v23, v67
	v_mul_f32_e32 v5, v22, v67
	v_fmac_f32_e32 v4, v22, v66
	v_fma_f32 v5, v23, v66, -v5
	v_add_u32_e32 v18, 0x2000, v101
	ds_write2_b64 v18, v[2:3], v[4:5] offset0:32 offset1:164
	s_waitcnt vmcnt(0)
	v_mul_f32_e32 v2, v25, v65
	v_mul_f32_e32 v3, v24, v65
	v_fmac_f32_e32 v2, v24, v64
	v_fma_f32 v3, v25, v64, -v3
	ds_write_b64 v101, v[2:3] offset:10560
	s_waitcnt lgkmcnt(0)
	s_barrier
	ds_read2_b64 v[2:5], v101 offset1:132
	ds_read2_b64 v[6:9], v0 offset0:8 offset1:140
	ds_read2_b64 v[10:13], v1 offset0:16 offset1:148
	;; [unrolled: 1-line block ×4, first 2 shown]
	ds_read_b64 v[22:23], v101 offset:10560
	s_waitcnt lgkmcnt(5)
	v_add_f32_e32 v24, v2, v4
	v_add_f32_e32 v25, v3, v5
	s_waitcnt lgkmcnt(4)
	v_add_f32_e32 v24, v24, v6
	v_add_f32_e32 v25, v25, v7
	v_add_f32_e32 v24, v24, v8
	v_add_f32_e32 v25, v25, v9
	s_waitcnt lgkmcnt(3)
	v_add_f32_e32 v24, v24, v10
	v_add_f32_e32 v25, v25, v11
	;; [unrolled: 5-line block ×4, first 2 shown]
	v_add_f32_e32 v24, v24, v20
	v_add_f32_e32 v26, v20, v6
	v_sub_f32_e32 v6, v6, v20
	v_add_f32_e32 v20, v18, v8
	v_sub_f32_e32 v8, v8, v18
	;; [unrolled: 2-line block ×4, first 2 shown]
	s_waitcnt lgkmcnt(0)
	v_sub_f32_e32 v13, v5, v23
	v_add_f32_e32 v25, v25, v21
	v_add_f32_e32 v27, v21, v7
	v_sub_f32_e32 v7, v7, v21
	v_add_f32_e32 v21, v19, v9
	v_sub_f32_e32 v9, v9, v19
	;; [unrolled: 2-line block ×4, first 2 shown]
	v_add_f32_e32 v12, v22, v4
	v_mul_f32_e32 v14, 0xbf0a6770, v13
	v_mul_f32_e32 v30, 0xbf68dda4, v13
	;; [unrolled: 1-line block ×5, first 2 shown]
	v_sub_f32_e32 v4, v4, v22
	v_fma_f32 v15, v12, s16, -v14
	v_fmac_f32_e32 v14, 0x3f575c64, v12
	v_fma_f32 v31, v12, s3, -v30
	v_fmac_f32_e32 v30, 0x3ed4b147, v12
	;; [unrolled: 2-line block ×5, first 2 shown]
	v_mul_f32_e32 v12, 0xbf0a6770, v4
	v_mul_f32_e32 v38, 0xbf68dda4, v4
	;; [unrolled: 1-line block ×5, first 2 shown]
	v_add_f32_e32 v5, v23, v5
	v_mov_b32_e32 v37, v12
	v_mov_b32_e32 v39, v38
	;; [unrolled: 1-line block ×5, first 2 shown]
	v_fmac_f32_e32 v37, 0x3f575c64, v5
	v_fma_f32 v12, v5, s16, -v12
	v_fmac_f32_e32 v39, 0x3ed4b147, v5
	v_fma_f32 v38, v5, s3, -v38
	;; [unrolled: 2-line block ×5, first 2 shown]
	v_add_f32_e32 v5, v2, v15
	v_add_f32_e32 v14, v2, v14
	v_add_f32_e32 v31, v2, v31
	v_add_f32_e32 v30, v2, v30
	v_add_f32_e32 v33, v2, v33
	v_add_f32_e32 v32, v2, v32
	v_add_f32_e32 v35, v2, v35
	v_add_f32_e32 v34, v2, v34
	v_add_f32_e32 v36, v2, v36
	v_add_f32_e32 v13, v2, v13
	v_add_f32_e32 v2, v24, v22
	v_mul_f32_e32 v22, 0xbf68dda4, v7
	v_add_f32_e32 v15, v3, v37
	v_add_f32_e32 v12, v3, v12
	;; [unrolled: 1-line block ×11, first 2 shown]
	v_fma_f32 v23, v26, s3, -v22
	v_add_f32_e32 v5, v23, v5
	v_mul_f32_e32 v23, 0xbf68dda4, v6
	v_fmac_f32_e32 v22, 0x3ed4b147, v26
	v_add_f32_e32 v14, v22, v14
	v_fma_f32 v22, v27, s3, -v23
	v_mov_b32_e32 v24, v23
	v_add_f32_e32 v12, v22, v12
	v_mul_f32_e32 v22, 0xbf4178ce, v7
	v_fmac_f32_e32 v24, 0x3ed4b147, v27
	v_fma_f32 v23, v26, s12, -v22
	v_fmac_f32_e32 v22, 0xbf27a4f4, v26
	v_add_f32_e32 v15, v24, v15
	v_mul_f32_e32 v24, 0xbf4178ce, v6
	v_add_f32_e32 v22, v22, v30
	v_mul_f32_e32 v30, 0x3e903f40, v7
	v_add_f32_e32 v23, v23, v31
	v_mov_b32_e32 v25, v24
	v_fma_f32 v31, v26, s17, -v30
	v_fmac_f32_e32 v25, 0xbf27a4f4, v27
	v_add_f32_e32 v31, v31, v33
	v_mul_f32_e32 v33, 0x3e903f40, v6
	v_fmac_f32_e32 v30, 0xbf75a155, v26
	v_add_f32_e32 v25, v25, v37
	v_fma_f32 v24, v27, s12, -v24
	v_mov_b32_e32 v37, v33
	v_add_f32_e32 v30, v30, v32
	v_fma_f32 v32, v27, s17, -v33
	v_mul_f32_e32 v33, 0x3f7d64f0, v7
	v_add_f32_e32 v24, v24, v38
	v_fma_f32 v38, v26, s2, -v33
	v_fmac_f32_e32 v37, 0xbf75a155, v27
	v_add_f32_e32 v35, v38, v35
	v_mul_f32_e32 v38, 0x3f7d64f0, v6
	v_fmac_f32_e32 v33, 0xbe11bafb, v26
	v_mul_f32_e32 v7, 0x3f0a6770, v7
	v_add_f32_e32 v37, v37, v39
	v_mov_b32_e32 v39, v38
	v_add_f32_e32 v33, v33, v34
	v_fma_f32 v34, v27, s2, -v38
	v_fma_f32 v38, v26, s16, -v7
	v_mul_f32_e32 v6, 0x3f0a6770, v6
	v_add_f32_e32 v36, v38, v36
	v_mov_b32_e32 v38, v6
	v_fma_f32 v6, v27, s16, -v6
	v_fmac_f32_e32 v7, 0x3f575c64, v26
	v_add_f32_e32 v4, v6, v4
	v_mul_f32_e32 v6, 0xbf7d64f0, v9
	v_add_f32_e32 v7, v7, v13
	v_fma_f32 v13, v20, s2, -v6
	v_add_f32_e32 v5, v13, v5
	v_mul_f32_e32 v13, 0xbf7d64f0, v8
	v_mov_b32_e32 v26, v13
	v_fma_f32 v13, v21, s2, -v13
	v_fmac_f32_e32 v6, 0xbe11bafb, v20
	v_add_f32_e32 v12, v13, v12
	v_mul_f32_e32 v13, 0x3e903f40, v9
	v_add_f32_e32 v6, v6, v14
	v_fma_f32 v14, v20, s17, -v13
	v_fmac_f32_e32 v26, 0xbe11bafb, v21
	v_add_f32_e32 v14, v14, v23
	v_mul_f32_e32 v23, 0x3e903f40, v8
	v_add_f32_e32 v15, v26, v15
	v_mov_b32_e32 v26, v23
	v_fmac_f32_e32 v13, 0xbf75a155, v20
	v_fmac_f32_e32 v26, 0xbf75a155, v21
	v_add_f32_e32 v13, v13, v22
	v_fma_f32 v22, v21, s17, -v23
	v_mul_f32_e32 v23, 0x3f68dda4, v9
	v_add_f32_e32 v25, v26, v25
	v_add_f32_e32 v22, v22, v24
	v_fma_f32 v24, v20, s3, -v23
	v_mul_f32_e32 v26, 0x3f68dda4, v8
	v_fmac_f32_e32 v23, 0x3ed4b147, v20
	v_add_f32_e32 v32, v32, v40
	v_fmac_f32_e32 v39, 0xbe11bafb, v27
	v_fmac_f32_e32 v38, 0x3f575c64, v27
	v_mov_b32_e32 v27, v26
	v_add_f32_e32 v23, v23, v30
	v_fma_f32 v26, v21, s3, -v26
	v_mul_f32_e32 v30, 0xbf0a6770, v9
	v_add_f32_e32 v24, v24, v31
	v_add_f32_e32 v26, v26, v32
	v_fma_f32 v31, v20, s16, -v30
	v_mul_f32_e32 v32, 0xbf0a6770, v8
	v_add_f32_e32 v34, v34, v42
	v_add_f32_e32 v31, v31, v35
	v_mov_b32_e32 v35, v32
	v_fma_f32 v32, v21, s16, -v32
	v_mul_f32_e32 v8, 0xbf4178ce, v8
	v_fmac_f32_e32 v30, 0x3f575c64, v20
	v_add_f32_e32 v32, v32, v34
	v_mul_f32_e32 v9, 0xbf4178ce, v9
	v_mov_b32_e32 v34, v8
	v_fma_f32 v8, v21, s12, -v8
	v_add_f32_e32 v30, v30, v33
	v_fma_f32 v33, v20, s12, -v9
	v_fmac_f32_e32 v9, 0xbf27a4f4, v20
	v_add_f32_e32 v4, v8, v4
	v_mul_f32_e32 v8, 0xbf4178ce, v11
	v_add_f32_e32 v7, v9, v7
	v_fma_f32 v9, v18, s12, -v8
	v_add_f32_e32 v5, v9, v5
	v_mul_f32_e32 v9, 0xbf4178ce, v10
	v_fmac_f32_e32 v8, 0xbf27a4f4, v18
	v_mov_b32_e32 v20, v9
	v_add_f32_e32 v6, v8, v6
	v_fma_f32 v8, v19, s12, -v9
	v_mul_f32_e32 v9, 0x3f7d64f0, v11
	v_add_f32_e32 v8, v8, v12
	v_fma_f32 v12, v18, s2, -v9
	v_fmac_f32_e32 v20, 0xbf27a4f4, v19
	v_add_f32_e32 v12, v12, v14
	v_mul_f32_e32 v14, 0x3f7d64f0, v10
	v_fmac_f32_e32 v9, 0xbe11bafb, v18
	v_add_f32_e32 v15, v20, v15
	v_mov_b32_e32 v20, v14
	v_add_f32_e32 v9, v9, v13
	v_fma_f32 v13, v19, s2, -v14
	v_mul_f32_e32 v14, 0xbf0a6770, v11
	v_fmac_f32_e32 v27, 0x3ed4b147, v21
	v_fmac_f32_e32 v35, 0x3f575c64, v21
	;; [unrolled: 1-line block ×3, first 2 shown]
	v_add_f32_e32 v13, v13, v22
	v_fma_f32 v21, v18, s16, -v14
	v_mul_f32_e32 v22, 0xbf0a6770, v10
	v_add_f32_e32 v21, v21, v24
	v_mov_b32_e32 v24, v22
	v_fmac_f32_e32 v14, 0x3f575c64, v18
	v_add_f32_e32 v27, v27, v37
	v_fmac_f32_e32 v24, 0x3f575c64, v19
	v_add_f32_e32 v14, v14, v23
	v_mul_f32_e32 v23, 0xbe903f40, v11
	v_add_f32_e32 v33, v33, v36
	v_add_f32_e32 v36, v24, v27
	v_fma_f32 v24, v18, s17, -v23
	v_fmac_f32_e32 v20, 0xbe11bafb, v19
	v_add_f32_e32 v31, v24, v31
	v_mul_f32_e32 v24, 0xbe903f40, v10
	v_add_f32_e32 v20, v20, v25
	v_mov_b32_e32 v25, v24
	v_fmac_f32_e32 v23, 0xbf75a155, v18
	v_fma_f32 v24, v19, s17, -v24
	v_mul_f32_e32 v11, 0x3f68dda4, v11
	v_add_f32_e32 v23, v23, v30
	v_add_f32_e32 v30, v24, v32
	v_fma_f32 v24, v18, s3, -v11
	v_mul_f32_e32 v10, 0x3f68dda4, v10
	v_fmac_f32_e32 v11, 0x3ed4b147, v18
	v_add_f32_e32 v32, v24, v33
	v_mov_b32_e32 v24, v10
	v_add_f32_e32 v18, v11, v7
	v_fma_f32 v7, v19, s3, -v10
	v_fma_f32 v22, v19, s16, -v22
	v_fmac_f32_e32 v25, 0xbf75a155, v19
	v_fmac_f32_e32 v24, 0x3ed4b147, v19
	v_add_f32_e32 v19, v7, v4
	v_mul_f32_e32 v7, 0xbe903f40, v16
	v_fma_f32 v4, v28, s17, -v7
	v_mul_f32_e32 v10, 0xbe903f40, v17
	v_fmac_f32_e32 v7, 0xbf75a155, v28
	v_add_f32_e32 v22, v22, v26
	v_add_f32_e32 v26, v7, v6
	v_fma_f32 v6, v29, s17, -v10
	v_add_f32_e32 v38, v38, v43
	v_add_f32_e32 v4, v4, v5
	v_mov_b32_e32 v5, v10
	v_add_f32_e32 v27, v6, v8
	v_mul_f32_e32 v8, 0x3f0a6770, v16
	v_mul_f32_e32 v10, 0x3f0a6770, v17
	v_add_f32_e32 v39, v39, v41
	v_add_f32_e32 v34, v34, v38
	v_fma_f32 v6, v28, s16, -v8
	v_mov_b32_e32 v7, v10
	v_fmac_f32_e32 v8, 0x3f575c64, v28
	v_add_f32_e32 v35, v35, v39
	v_add_f32_e32 v33, v24, v34
	v_fmac_f32_e32 v7, 0x3f575c64, v29
	v_add_f32_e32 v24, v8, v9
	v_fma_f32 v8, v29, s16, -v10
	v_mul_f32_e32 v10, 0xbf4178ce, v16
	v_add_f32_e32 v35, v25, v35
	v_add_f32_e32 v7, v7, v20
	;; [unrolled: 1-line block ×3, first 2 shown]
	v_fma_f32 v8, v28, s12, -v10
	v_fmac_f32_e32 v10, 0xbf27a4f4, v28
	v_mul_f32_e32 v20, 0xbf7d64f0, v16
	v_fmac_f32_e32 v5, 0xbf75a155, v29
	v_add_f32_e32 v8, v8, v21
	v_add_f32_e32 v10, v10, v14
	v_mul_f32_e32 v14, 0x3f68dda4, v16
	v_fma_f32 v16, v28, s2, -v20
	v_mul_f32_e32 v21, 0xbf7d64f0, v17
	v_fmac_f32_e32 v20, 0xbe11bafb, v28
	v_add_f32_e32 v5, v5, v15
	v_mul_f32_e32 v11, 0xbf4178ce, v17
	v_mul_f32_e32 v15, 0x3f68dda4, v17
	v_mov_b32_e32 v17, v21
	v_add_f32_e32 v18, v20, v18
	v_fma_f32 v20, v29, s2, -v21
	v_mov_b32_e32 v9, v11
	v_mov_b32_e32 v13, v15
	v_fmac_f32_e32 v17, 0xbe11bafb, v29
	v_add_f32_e32 v19, v20, v19
	v_mul_lo_u16_e32 v20, 11, v102
	v_add_f32_e32 v6, v6, v12
	v_fmac_f32_e32 v9, 0xbf27a4f4, v29
	v_fma_f32 v11, v29, s12, -v11
	v_fma_f32 v12, v28, s3, -v14
	v_fmac_f32_e32 v13, 0x3ed4b147, v29
	v_fmac_f32_e32 v14, 0x3ed4b147, v28
	v_fma_f32 v15, v29, s3, -v15
	v_add_f32_e32 v16, v16, v32
	v_add_f32_e32 v17, v17, v33
	v_lshlrev_b32_e32 v106, 3, v20
	v_add_f32_e32 v9, v9, v36
	v_add_f32_e32 v11, v11, v22
	v_add_f32_e32 v12, v12, v31
	v_add_f32_e32 v13, v13, v35
	v_add_f32_e32 v14, v14, v23
	v_add_f32_e32 v15, v15, v30
	s_barrier
	ds_write2_b64 v106, v[2:3], v[4:5] offset1:1
	ds_write2_b64 v106, v[6:7], v[8:9] offset0:2 offset1:3
	ds_write2_b64 v106, v[12:13], v[16:17] offset0:4 offset1:5
	;; [unrolled: 1-line block ×4, first 2 shown]
	ds_write_b64 v106, v[26:27] offset:80
	s_waitcnt lgkmcnt(0)
	s_barrier
	ds_read2_b64 v[20:23], v101 offset1:132
	ds_read2_b64 v[16:19], v0 offset0:8 offset1:228
	v_add_u32_e32 v0, 0x1c00, v101
	ds_read2_b64 v[6:9], v0 offset0:72 offset1:204
	ds_read2_b64 v[10:13], v1 offset0:104 offset1:236
	ds_read_b64 v[14:15], v101 offset:9856
	s_movk_i32 s2, 0x58
	v_cmp_gt_u16_e64 s[2:3], s2, v102
                                        ; implicit-def: $vgpr28
	s_and_saveexec_b64 s[4:5], s[2:3]
	s_cbranch_execz .LBB0_3
; %bb.2:
	ds_read_b64 v[24:25], v101 offset:3168
	ds_read_b64 v[26:27], v101 offset:7040
	ds_read_b64 v[28:29], v101 offset:10912
.LBB0_3:
	s_or_b64 exec, exec, s[4:5]
	s_movk_i32 s4, 0x108
	v_add_co_u32_e32 v36, vcc, s4, v102
	s_movk_i32 s4, 0x75
	v_mul_lo_u16_sdwa v0, v102, s4 dst_sel:DWORD dst_unused:UNUSED_PAD src0_sel:BYTE_0 src1_sel:DWORD
	v_sub_u16_sdwa v1, v102, v0 dst_sel:DWORD dst_unused:UNUSED_PAD src0_sel:DWORD src1_sel:BYTE_1
	v_lshrrev_b16_e32 v1, 1, v1
	v_and_b32_e32 v1, 0x7f, v1
	v_add_u16_sdwa v0, v1, v0 dst_sel:DWORD dst_unused:UNUSED_PAD src0_sel:DWORD src1_sel:BYTE_1
	v_lshrrev_b16_e32 v45, 3, v0
	v_mul_lo_u16_e32 v0, 11, v45
	v_sub_u16_e32 v0, v102, v0
	v_and_b32_e32 v46, 0xff, v0
	v_lshlrev_b32_e32 v0, 4, v46
	global_load_dwordx4 v[0:3], v0, s[14:15]
	v_add_co_u32_e32 v4, vcc, 0x84, v102
	s_mov_b32 s4, 0xba2f
	v_mul_u32_u24_e32 v45, 33, v45
	v_add_lshl_u32 v107, v45, v46, 3
	s_waitcnt vmcnt(0) lgkmcnt(3)
	v_mul_f32_e32 v5, v19, v1
	v_fma_f32 v35, v18, v0, -v5
	s_waitcnt lgkmcnt(2)
	v_mul_f32_e32 v5, v7, v3
	v_fma_f32 v37, v6, v2, -v5
	v_mul_u32_u24_sdwa v5, v4, s4 dst_sel:DWORD dst_unused:UNUSED_PAD src0_sel:WORD_0 src1_sel:DWORD
	v_lshrrev_b32_e32 v47, 19, v5
	v_mul_lo_u16_e32 v5, 11, v47
	v_sub_u16_e32 v48, v4, v5
	v_lshlrev_b16_e32 v4, 1, v48
	v_mul_f32_e32 v38, v6, v3
	v_lshlrev_b32_e32 v4, 3, v4
	v_fmac_f32_e32 v38, v7, v2
	global_load_dwordx4 v[4:7], v4, s[14:15]
	v_mul_f32_e32 v33, v18, v1
	v_fmac_f32_e32 v33, v19, v0
	s_waitcnt vmcnt(0) lgkmcnt(1)
	v_mul_f32_e32 v18, v11, v5
	v_fma_f32 v40, v10, v4, -v18
	v_mul_f32_e32 v41, v10, v5
	v_mul_f32_e32 v10, v9, v7
	v_fma_f32 v42, v8, v6, -v10
	v_mul_f32_e32 v43, v8, v7
	v_mul_u32_u24_sdwa v8, v36, s4 dst_sel:DWORD dst_unused:UNUSED_PAD src0_sel:WORD_0 src1_sel:DWORD
	v_lshrrev_b32_e32 v49, 19, v8
	v_mul_lo_u16_e32 v8, 11, v49
	v_sub_u16_e32 v50, v36, v8
	v_lshlrev_b16_e32 v8, 1, v50
	v_lshlrev_b32_e32 v8, 3, v8
	v_fmac_f32_e32 v41, v11, v4
	v_fmac_f32_e32 v43, v9, v6
	global_load_dwordx4 v[8:11], v8, s[14:15]
	s_waitcnt vmcnt(0)
	v_mul_f32_e32 v18, v13, v9
	v_fma_f32 v44, v12, v8, -v18
	v_mul_f32_e32 v51, v12, v9
	s_waitcnt lgkmcnt(0)
	v_mul_f32_e32 v12, v15, v11
	v_fma_f32 v52, v14, v10, -v12
	v_add_u16_e32 v12, 0x18c, v102
	v_fmac_f32_e32 v51, v13, v8
	v_mul_u32_u24_e32 v13, 0xba2f, v12
	v_lshrrev_b32_e32 v104, 19, v13
	v_mul_lo_u16_e32 v13, 11, v104
	v_sub_u16_e32 v105, v12, v13
	v_lshlrev_b16_e32 v12, 1, v105
	v_mul_f32_e32 v53, v14, v11
	v_lshlrev_b32_e32 v12, 3, v12
	v_fmac_f32_e32 v53, v15, v10
	global_load_dwordx4 v[12:15], v12, s[14:15]
	s_waitcnt vmcnt(0)
	s_barrier
	v_mul_f32_e32 v18, v27, v13
	v_fma_f32 v18, v26, v12, -v18
	v_mul_f32_e32 v19, v26, v13
	v_mul_f32_e32 v26, v29, v15
	v_fmac_f32_e32 v19, v27, v12
	v_fma_f32 v26, v28, v14, -v26
	v_mul_f32_e32 v27, v28, v15
	v_add_f32_e32 v28, v20, v35
	v_add_f32_e32 v30, v28, v37
	v_add_f32_e32 v28, v35, v37
	v_fma_f32 v32, -0.5, v28, v20
	v_sub_f32_e32 v20, v33, v38
	v_mov_b32_e32 v34, v32
	v_fmac_f32_e32 v34, 0x3f5db3d7, v20
	v_fmac_f32_e32 v32, 0xbf5db3d7, v20
	v_add_f32_e32 v20, v21, v33
	v_add_f32_e32 v31, v20, v38
	v_add_f32_e32 v20, v33, v38
	v_fma_f32 v33, -0.5, v20, v21
	v_sub_f32_e32 v20, v35, v37
	v_mov_b32_e32 v35, v33
	v_fmac_f32_e32 v35, 0xbf5db3d7, v20
	v_fmac_f32_e32 v33, 0x3f5db3d7, v20
	v_add_f32_e32 v20, v22, v40
	v_add_f32_e32 v37, v20, v42
	v_add_f32_e32 v20, v40, v42
	v_fma_f32 v22, -0.5, v20, v22
	v_sub_f32_e32 v20, v41, v43
	v_mov_b32_e32 v39, v22
	v_fmac_f32_e32 v39, 0x3f5db3d7, v20
	v_fmac_f32_e32 v22, 0xbf5db3d7, v20
	v_add_f32_e32 v20, v23, v41
	v_add_f32_e32 v38, v20, v43
	v_add_f32_e32 v20, v41, v43
	v_fmac_f32_e32 v23, -0.5, v20
	v_sub_f32_e32 v20, v40, v42
	v_mov_b32_e32 v40, v23
	v_fmac_f32_e32 v40, 0xbf5db3d7, v20
	v_fmac_f32_e32 v23, 0x3f5db3d7, v20
	v_add_f32_e32 v20, v16, v44
	v_add_f32_e32 v41, v20, v52
	;; [unrolled: 1-line block ×3, first 2 shown]
	v_fma_f32 v16, -0.5, v20, v16
	v_sub_f32_e32 v20, v51, v53
	v_mov_b32_e32 v43, v16
	v_fmac_f32_e32 v43, 0x3f5db3d7, v20
	v_fmac_f32_e32 v16, 0xbf5db3d7, v20
	v_add_f32_e32 v20, v17, v51
	v_add_f32_e32 v42, v20, v53
	;; [unrolled: 1-line block ×3, first 2 shown]
	v_fmac_f32_e32 v17, -0.5, v20
	v_fmac_f32_e32 v27, v29, v14
	v_sub_f32_e32 v20, v44, v52
	v_mov_b32_e32 v44, v17
	v_fmac_f32_e32 v44, 0xbf5db3d7, v20
	v_fmac_f32_e32 v17, 0x3f5db3d7, v20
	v_add_f32_e32 v20, v18, v26
	v_add_f32_e32 v28, v19, v27
	ds_write2_b64 v107, v[30:31], v[34:35] offset1:11
	ds_write_b64 v107, v[32:33] offset:176
	v_mad_legacy_u16 v30, v47, 33, v48
	v_fma_f32 v20, -0.5, v20, v24
	v_fma_f32 v28, -0.5, v28, v25
	v_lshlrev_b32_e32 v108, 3, v30
	v_sub_f32_e32 v21, v19, v27
	v_mov_b32_e32 v93, v20
	v_sub_f32_e32 v29, v18, v26
	v_mov_b32_e32 v94, v28
	ds_write2_b64 v108, v[37:38], v[39:40] offset1:11
	ds_write_b64 v108, v[22:23] offset:176
	v_mad_legacy_u16 v22, v49, 33, v50
	v_fmac_f32_e32 v93, 0xbf5db3d7, v21
	v_fmac_f32_e32 v94, 0x3f5db3d7, v29
	v_lshlrev_b32_e32 v109, 3, v22
	ds_write2_b64 v109, v[41:42], v[43:44] offset1:11
	ds_write_b64 v109, v[16:17] offset:176
	s_and_saveexec_b64 s[4:5], s[2:3]
	s_cbranch_execz .LBB0_5
; %bb.4:
	v_mul_f32_e32 v16, 0x3f5db3d7, v21
	v_mul_f32_e32 v17, 0x3f5db3d7, v29
	v_add_f32_e32 v16, v16, v20
	v_add_f32_e32 v19, v25, v19
	;; [unrolled: 1-line block ×3, first 2 shown]
	v_mad_legacy_u16 v20, v104, 33, v105
	v_sub_f32_e32 v17, v28, v17
	v_add_f32_e32 v19, v19, v27
	v_add_f32_e32 v18, v18, v26
	v_lshlrev_b32_e32 v20, 3, v20
	ds_write2_b64 v20, v[18:19], v[16:17] offset1:11
	ds_write_b64 v20, v[93:94] offset:176
.LBB0_5:
	s_or_b64 exec, exec, s[4:5]
	s_movk_i32 s4, 0xf9
	v_mul_lo_u16_sdwa v16, v102, s4 dst_sel:DWORD dst_unused:UNUSED_PAD src0_sel:BYTE_0 src1_sel:DWORD
	v_lshrrev_b16_e32 v59, 13, v16
	v_mul_lo_u16_e32 v16, 33, v59
	v_sub_u16_e32 v16, v102, v16
	v_and_b32_e32 v60, 0xff, v16
	v_mov_b32_e32 v17, s15
	s_movk_i32 s4, 0x50
	v_mov_b32_e32 v16, s14
	v_mad_u64_u32 v[37:38], s[4:5], v60, s4, v[16:17]
	s_waitcnt lgkmcnt(0)
	s_barrier
	global_load_dwordx4 v[28:31], v[37:38], off offset:176
	global_load_dwordx4 v[24:27], v[37:38], off offset:192
	;; [unrolled: 1-line block ×5, first 2 shown]
	ds_read2_b64 v[37:40], v101 offset1:132
	v_add_u32_e32 v61, 0x800, v101
	v_add_u32_e32 v45, 0x1000, v101
	;; [unrolled: 1-line block ×3, first 2 shown]
	ds_read_b64 v[57:58], v101 offset:10560
	v_add_u32_e32 v62, 0x2000, v101
	ds_read2_b64 v[41:44], v61 offset0:8 offset1:140
	ds_read2_b64 v[45:48], v45 offset0:16 offset1:148
	;; [unrolled: 1-line block ×4, first 2 shown]
	s_mov_b32 s4, 0x3f575c64
	s_mov_b32 s5, 0x3ed4b147
	;; [unrolled: 1-line block ×4, first 2 shown]
	s_waitcnt vmcnt(0) lgkmcnt(0)
	s_barrier
	v_mul_f32_e32 v63, v40, v29
	v_mul_f32_e32 v87, v39, v29
	;; [unrolled: 1-line block ×9, first 2 shown]
	v_fma_f32 v39, v39, v28, -v63
	v_fmac_f32_e32 v87, v40, v28
	v_mul_f32_e32 v91, v43, v25
	v_mul_f32_e32 v95, v45, v27
	;; [unrolled: 1-line block ×5, first 2 shown]
	v_fma_f32 v41, v41, v30, -v88
	v_fmac_f32_e32 v89, v42, v30
	v_fma_f32 v42, v43, v24, -v90
	v_fma_f32 v43, v45, v26, -v92
	;; [unrolled: 1-line block ×3, first 2 shown]
	v_fmac_f32_e32 v99, v50, v22
	v_fma_f32 v40, v57, v34, -v115
	v_add_f32_e32 v49, v37, v39
	v_add_f32_e32 v50, v38, v87
	v_mul_f32_e32 v97, v47, v21
	v_mul_f32_e32 v110, v51, v17
	;; [unrolled: 1-line block ×3, first 2 shown]
	v_fmac_f32_e32 v91, v44, v24
	v_fmac_f32_e32 v95, v46, v26
	v_fma_f32 v44, v47, v20, -v96
	v_fma_f32 v46, v51, v16, -v100
	;; [unrolled: 1-line block ×3, first 2 shown]
	v_add_f32_e32 v51, v39, v40
	v_sub_f32_e32 v53, v39, v40
	v_add_f32_e32 v39, v49, v41
	v_add_f32_e32 v49, v50, v89
	;; [unrolled: 1-line block ×4, first 2 shown]
	v_fmac_f32_e32 v97, v48, v20
	v_add_f32_e32 v39, v39, v43
	v_add_f32_e32 v49, v49, v95
	;; [unrolled: 1-line block ×4, first 2 shown]
	v_fmac_f32_e32 v110, v52, v16
	v_add_f32_e32 v39, v39, v45
	v_add_f32_e32 v49, v49, v99
	v_mul_f32_e32 v113, v56, v33
	v_mul_f32_e32 v114, v55, v33
	;; [unrolled: 1-line block ×3, first 2 shown]
	v_fmac_f32_e32 v112, v54, v18
	v_add_f32_e32 v39, v39, v46
	v_add_f32_e32 v49, v49, v110
	v_fma_f32 v48, v55, v32, -v113
	v_fmac_f32_e32 v114, v56, v32
	v_fmac_f32_e32 v116, v58, v34
	v_add_f32_e32 v39, v39, v47
	v_add_f32_e32 v49, v49, v112
	;; [unrolled: 1-line block ×3, first 2 shown]
	v_sub_f32_e32 v54, v87, v116
	v_mul_f32_e32 v55, 0xbf0a6770, v53
	v_add_f32_e32 v39, v39, v48
	v_add_f32_e32 v49, v49, v114
	v_mul_f32_e32 v63, 0xbf68dda4, v53
	v_mul_f32_e32 v92, 0xbf7d64f0, v53
	;; [unrolled: 1-line block ×5, first 2 shown]
	v_mov_b32_e32 v57, v55
	v_add_f32_e32 v39, v39, v40
	v_add_f32_e32 v40, v49, v116
	v_fma_f32 v49, v52, s4, -v55
	v_mul_f32_e32 v55, 0xbf68dda4, v54
	v_mov_b32_e32 v87, v63
	v_mul_f32_e32 v88, 0xbf7d64f0, v54
	v_mov_b32_e32 v96, v92
	v_mul_f32_e32 v98, 0xbf4178ce, v54
	v_mov_b32_e32 v113, v111
	v_mul_f32_e32 v54, 0xbe903f40, v54
	v_mov_b32_e32 v116, v53
	v_fma_f32 v56, v51, s4, -v50
	v_fmac_f32_e32 v50, 0x3f575c64, v51
	v_fmac_f32_e32 v57, 0x3f575c64, v52
	v_fma_f32 v58, v51, s5, -v55
	v_fmac_f32_e32 v87, 0x3ed4b147, v52
	v_fmac_f32_e32 v55, 0x3ed4b147, v51
	v_fma_f32 v63, v52, s5, -v63
	v_fma_f32 v90, v51, s12, -v88
	v_fmac_f32_e32 v96, 0xbe11bafb, v52
	v_fmac_f32_e32 v88, 0xbe11bafb, v51
	v_fma_f32 v92, v52, s12, -v92
	;; [unrolled: 4-line block ×4, first 2 shown]
	v_add_f32_e32 v57, v38, v57
	v_add_f32_e32 v49, v38, v49
	;; [unrolled: 1-line block ×11, first 2 shown]
	v_sub_f32_e32 v41, v41, v48
	v_sub_f32_e32 v48, v89, v114
	v_mul_f32_e32 v53, 0xbf68dda4, v48
	v_add_f32_e32 v56, v37, v56
	v_add_f32_e32 v50, v37, v50
	;; [unrolled: 1-line block ×10, first 2 shown]
	v_fma_f32 v54, v51, s5, -v53
	v_add_f32_e32 v52, v89, v114
	v_add_f32_e32 v54, v54, v56
	v_mul_f32_e32 v56, 0xbf68dda4, v41
	v_fmac_f32_e32 v53, 0x3ed4b147, v51
	v_add_f32_e32 v50, v53, v50
	v_fma_f32 v53, v52, s5, -v56
	v_add_f32_e32 v49, v53, v49
	v_mul_f32_e32 v53, 0xbf4178ce, v48
	v_mov_b32_e32 v89, v56
	v_fma_f32 v56, v51, s16, -v53
	v_fmac_f32_e32 v89, 0x3ed4b147, v52
	v_add_f32_e32 v56, v56, v58
	v_mul_f32_e32 v58, 0xbf4178ce, v41
	v_add_f32_e32 v57, v89, v57
	v_mov_b32_e32 v89, v58
	v_fmac_f32_e32 v53, 0xbf27a4f4, v51
	v_fmac_f32_e32 v89, 0xbf27a4f4, v52
	v_add_f32_e32 v53, v53, v55
	v_fma_f32 v55, v52, s16, -v58
	v_mul_f32_e32 v58, 0x3e903f40, v48
	v_add_f32_e32 v87, v89, v87
	v_add_f32_e32 v55, v55, v63
	v_fma_f32 v63, v51, s17, -v58
	v_mul_f32_e32 v89, 0x3e903f40, v41
	v_add_f32_e32 v63, v63, v90
	v_mov_b32_e32 v90, v89
	v_fmac_f32_e32 v58, 0xbf75a155, v51
	v_fmac_f32_e32 v90, 0xbf75a155, v52
	v_add_f32_e32 v58, v58, v88
	v_fma_f32 v88, v52, s17, -v89
	v_mul_f32_e32 v89, 0x3f7d64f0, v48
	v_add_f32_e32 v90, v90, v96
	v_add_f32_e32 v88, v88, v92
	v_fma_f32 v92, v51, s12, -v89
	v_mul_f32_e32 v96, 0x3f7d64f0, v41
	v_add_f32_e32 v92, v92, v100
	v_mov_b32_e32 v100, v96
	v_fma_f32 v96, v52, s12, -v96
	v_mul_f32_e32 v41, 0x3f0a6770, v41
	v_add_f32_e32 v96, v96, v111
	v_mov_b32_e32 v111, v41
	v_fma_f32 v41, v52, s4, -v41
	v_fmac_f32_e32 v89, 0xbe11bafb, v51
	v_mul_f32_e32 v48, 0x3f0a6770, v48
	v_add_f32_e32 v38, v41, v38
	v_add_f32_e32 v41, v42, v47
	v_sub_f32_e32 v42, v42, v47
	v_sub_f32_e32 v47, v91, v112
	v_add_f32_e32 v89, v89, v98
	v_fma_f32 v98, v51, s4, -v48
	v_fmac_f32_e32 v48, 0x3f575c64, v51
	v_mul_f32_e32 v51, 0xbf7d64f0, v47
	v_fmac_f32_e32 v100, 0xbe11bafb, v52
	v_fmac_f32_e32 v111, 0x3f575c64, v52
	v_fma_f32 v52, v41, s12, -v51
	v_add_f32_e32 v37, v48, v37
	v_add_f32_e32 v48, v91, v112
	v_add_f32_e32 v52, v52, v54
	v_mul_f32_e32 v54, 0xbf7d64f0, v42
	v_fmac_f32_e32 v51, 0xbe11bafb, v41
	v_add_f32_e32 v50, v51, v50
	v_fma_f32 v51, v48, s12, -v54
	v_add_f32_e32 v49, v51, v49
	v_mul_f32_e32 v51, 0x3e903f40, v47
	v_mov_b32_e32 v91, v54
	v_fma_f32 v54, v41, s17, -v51
	v_add_f32_e32 v54, v54, v56
	v_mul_f32_e32 v56, 0x3e903f40, v42
	v_fmac_f32_e32 v51, 0xbf75a155, v41
	v_add_f32_e32 v51, v51, v53
	v_fma_f32 v53, v48, s17, -v56
	v_fmac_f32_e32 v91, 0xbe11bafb, v48
	v_add_f32_e32 v53, v53, v55
	v_mul_f32_e32 v55, 0x3f68dda4, v47
	v_add_f32_e32 v57, v91, v57
	v_mov_b32_e32 v91, v56
	v_fma_f32 v56, v41, s5, -v55
	v_fmac_f32_e32 v91, 0xbf75a155, v48
	v_add_f32_e32 v56, v56, v63
	v_mul_f32_e32 v63, 0x3f68dda4, v42
	v_add_f32_e32 v87, v91, v87
	v_mov_b32_e32 v91, v63
	v_fmac_f32_e32 v55, 0x3ed4b147, v41
	v_fmac_f32_e32 v91, 0x3ed4b147, v48
	v_add_f32_e32 v55, v55, v58
	v_fma_f32 v58, v48, s5, -v63
	v_mul_f32_e32 v63, 0xbf0a6770, v47
	v_add_f32_e32 v90, v91, v90
	v_add_f32_e32 v58, v58, v88
	v_fma_f32 v88, v41, s4, -v63
	v_mul_f32_e32 v91, 0xbf0a6770, v42
	v_fmac_f32_e32 v63, 0x3f575c64, v41
	v_mul_f32_e32 v47, 0xbf4178ce, v47
	v_mul_f32_e32 v42, 0xbf4178ce, v42
	v_add_f32_e32 v88, v88, v92
	v_mov_b32_e32 v92, v91
	v_add_f32_e32 v63, v63, v89
	v_fma_f32 v89, v48, s4, -v91
	v_fma_f32 v91, v41, s16, -v47
	v_fmac_f32_e32 v47, 0xbf27a4f4, v41
	v_fma_f32 v41, v48, s16, -v42
	v_add_f32_e32 v38, v41, v38
	v_add_f32_e32 v41, v43, v46
	v_sub_f32_e32 v43, v43, v46
	v_sub_f32_e32 v46, v95, v110
	v_add_f32_e32 v89, v89, v96
	v_mov_b32_e32 v96, v42
	v_add_f32_e32 v37, v47, v37
	v_mul_f32_e32 v47, 0xbf4178ce, v46
	v_fmac_f32_e32 v92, 0x3f575c64, v48
	v_fmac_f32_e32 v96, 0xbf27a4f4, v48
	v_fma_f32 v48, v41, s16, -v47
	v_add_f32_e32 v42, v95, v110
	v_add_f32_e32 v48, v48, v52
	v_mul_f32_e32 v52, 0xbf4178ce, v43
	v_fmac_f32_e32 v47, 0xbf27a4f4, v41
	v_add_f32_e32 v47, v47, v50
	v_fma_f32 v50, v42, s16, -v52
	v_add_f32_e32 v49, v50, v49
	v_mul_f32_e32 v50, 0x3f7d64f0, v46
	v_mov_b32_e32 v95, v52
	v_fma_f32 v52, v41, s12, -v50
	v_add_f32_e32 v52, v52, v54
	v_mul_f32_e32 v54, 0x3f7d64f0, v43
	v_fmac_f32_e32 v50, 0xbe11bafb, v41
	v_add_f32_e32 v50, v50, v51
	v_fma_f32 v51, v42, s12, -v54
	v_fmac_f32_e32 v95, 0xbf27a4f4, v42
	v_add_f32_e32 v51, v51, v53
	v_mul_f32_e32 v53, 0xbf0a6770, v46
	v_add_f32_e32 v57, v95, v57
	v_mov_b32_e32 v95, v54
	v_fma_f32 v54, v41, s4, -v53
	v_fmac_f32_e32 v95, 0xbe11bafb, v42
	v_add_f32_e32 v54, v54, v56
	v_mul_f32_e32 v56, 0xbf0a6770, v43
	v_fmac_f32_e32 v53, 0x3f575c64, v41
	v_add_f32_e32 v87, v95, v87
	v_mov_b32_e32 v95, v56
	v_add_f32_e32 v53, v53, v55
	v_fma_f32 v55, v42, s4, -v56
	v_mul_f32_e32 v56, 0xbe903f40, v46
	v_add_f32_e32 v55, v55, v58
	v_fma_f32 v58, v41, s17, -v56
	v_add_f32_e32 v98, v98, v115
	v_fmac_f32_e32 v95, 0x3f575c64, v42
	v_add_f32_e32 v58, v58, v88
	v_mul_f32_e32 v88, 0xbe903f40, v43
	v_fmac_f32_e32 v56, 0xbf75a155, v41
	v_mul_f32_e32 v46, 0x3f68dda4, v46
	v_add_f32_e32 v111, v111, v116
	v_add_f32_e32 v91, v91, v98
	;; [unrolled: 1-line block ×3, first 2 shown]
	v_mov_b32_e32 v95, v88
	v_add_f32_e32 v56, v56, v63
	v_fma_f32 v63, v42, s17, -v88
	v_fma_f32 v88, v41, s5, -v46
	v_mul_f32_e32 v43, 0x3f68dda4, v43
	v_fmac_f32_e32 v46, 0x3ed4b147, v41
	v_sub_f32_e32 v114, v97, v99
	v_add_f32_e32 v100, v100, v113
	v_add_f32_e32 v96, v96, v111
	;; [unrolled: 1-line block ×4, first 2 shown]
	v_mov_b32_e32 v89, v43
	v_add_f32_e32 v91, v46, v37
	v_fma_f32 v37, v42, s5, -v43
	v_add_f32_e32 v111, v44, v45
	v_sub_f32_e32 v113, v44, v45
	v_mul_f32_e32 v41, 0xbe903f40, v114
	v_fmac_f32_e32 v95, 0xbf75a155, v42
	v_fmac_f32_e32 v89, 0x3ed4b147, v42
	v_add_f32_e32 v110, v37, v38
	v_add_f32_e32 v112, v97, v99
	v_fma_f32 v37, v111, s17, -v41
	v_mul_f32_e32 v42, 0xbe903f40, v113
	v_fmac_f32_e32 v41, 0xbf75a155, v111
	v_add_f32_e32 v97, v41, v47
	v_fma_f32 v41, v112, s17, -v42
	v_mul_f32_e32 v43, 0x3f0a6770, v114
	v_add_f32_e32 v98, v41, v49
	v_fma_f32 v41, v111, s4, -v43
	v_mul_f32_e32 v44, 0x3f0a6770, v113
	v_fmac_f32_e32 v43, 0x3f575c64, v111
	v_add_f32_e32 v99, v43, v50
	v_fma_f32 v43, v112, s4, -v44
	v_mul_f32_e32 v45, 0xbf4178ce, v114
	v_add_f32_e32 v92, v92, v100
	v_add_f32_e32 v37, v37, v48
	v_mov_b32_e32 v38, v42
	v_add_f32_e32 v41, v41, v52
	v_add_f32_e32 v100, v43, v51
	v_fma_f32 v43, v111, s16, -v45
	v_mul_f32_e32 v46, 0xbf4178ce, v113
	v_fmac_f32_e32 v45, 0xbf27a4f4, v111
	v_mul_f32_e32 v48, 0x3f68dda4, v113
	v_mul_f32_e32 v52, 0xbf7d64f0, v113
	v_add_f32_e32 v92, v95, v92
	v_fmac_f32_e32 v38, 0xbf75a155, v112
	v_mov_b32_e32 v42, v44
	v_mov_b32_e32 v44, v46
	v_add_f32_e32 v95, v45, v53
	v_fma_f32 v45, v112, s16, -v46
	v_mul_f32_e32 v47, 0x3f68dda4, v114
	v_mov_b32_e32 v46, v48
	v_mul_f32_e32 v51, 0xbf7d64f0, v114
	v_mov_b32_e32 v50, v52
	v_fma_f32 v52, v112, s12, -v52
	v_mul_u32_u24_e32 v53, 0x16b, v59
	v_add_f32_e32 v89, v89, v96
	v_add_f32_e32 v38, v38, v57
	v_fmac_f32_e32 v42, 0x3f575c64, v112
	v_fmac_f32_e32 v44, 0xbf27a4f4, v112
	v_add_f32_e32 v96, v45, v55
	v_fma_f32 v45, v111, s5, -v47
	v_fmac_f32_e32 v46, 0x3ed4b147, v112
	v_fmac_f32_e32 v47, 0x3ed4b147, v111
	v_fma_f32 v48, v112, s5, -v48
	v_fma_f32 v49, v111, s12, -v51
	v_fmac_f32_e32 v50, 0xbe11bafb, v112
	v_fmac_f32_e32 v51, 0xbe11bafb, v111
	v_add_f32_e32 v52, v52, v110
	v_add_lshl_u32 v110, v53, v60, 3
	v_add_f32_e32 v42, v42, v87
	v_add_f32_e32 v43, v43, v54
	;; [unrolled: 1-line block ×10, first 2 shown]
	ds_write2_b64 v110, v[39:40], v[37:38] offset1:33
	ds_write2_b64 v110, v[41:42], v[43:44] offset0:66 offset1:99
	ds_write2_b64 v110, v[45:46], v[49:50] offset0:132 offset1:165
	;; [unrolled: 1-line block ×3, first 2 shown]
	v_add_u32_e32 v37, 0x800, v110
	ds_write2_b64 v37, v[95:96], v[99:100] offset0:8 offset1:41
	ds_write_b64 v110, v[97:98] offset:2640
	v_add_u32_e32 v37, 0x1400, v101
	s_waitcnt lgkmcnt(0)
	s_barrier
	ds_read2_b64 v[48:51], v101 offset1:132
	ds_read2_b64 v[52:55], v61 offset0:107 offset1:239
	ds_read2_b64 v[56:59], v37 offset0:86 offset1:218
	;; [unrolled: 1-line block ×3, first 2 shown]
	s_movk_i32 s4, 0x63
	s_movk_i32 s12, 0x1000
	v_cmp_gt_u16_e64 s[4:5], s4, v102
	s_and_saveexec_b64 s[16:17], s[4:5]
	s_cbranch_execz .LBB0_7
; %bb.6:
	ds_read_b64 v[95:96], v101 offset:2112
	ds_read_b64 v[99:100], v101 offset:5016
	;; [unrolled: 1-line block ×4, first 2 shown]
.LBB0_7:
	s_or_b64 exec, exec, s[16:17]
	v_add_u32_e32 v37, 0xffffff9d, v102
	v_mad_u64_u32 v[91:92], s[16:17], v102, 24, s[14:15]
	v_cndmask_b32_e64 v36, v37, v36, s[4:5]
	v_mul_hi_i32_i24_e32 v37, 24, v36
	v_mul_i32_i24_e32 v36, 24, v36
	v_mov_b32_e32 v38, s15
	v_add_co_u32_e32 v44, vcc, s14, v36
	v_addc_co_u32_e32 v45, vcc, v38, v37, vcc
	global_load_dwordx2 v[89:90], v[91:92], off offset:2832
	global_load_dwordx4 v[40:43], v[91:92], off offset:2816
	global_load_dwordx4 v[36:39], v[44:45], off offset:2816
	global_load_dwordx2 v[87:88], v[44:45], off offset:2832
	v_add_co_u32_e32 v44, vcc, s12, v91
	s_movk_i32 s14, 0x1760
	v_addc_co_u32_e32 v45, vcc, 0, v92, vcc
	v_add_co_u32_e32 v91, vcc, s14, v91
	v_addc_co_u32_e32 v92, vcc, 0, v92, vcc
	global_load_dwordx4 v[44:47], v[44:45], off offset:1888
	s_waitcnt vmcnt(4) lgkmcnt(0)
	v_mul_f32_e32 v116, v61, v90
	global_load_dwordx2 v[91:92], v[91:92], off offset:16
	s_waitcnt vmcnt(4)
	v_mul_f32_e32 v112, v53, v41
	v_mul_f32_e32 v113, v52, v41
	v_mul_f32_e32 v114, v57, v43
	v_mul_f32_e32 v115, v56, v43
	v_mul_f32_e32 v117, v60, v90
	s_waitcnt vmcnt(2)
	v_mul_f32_e32 v122, v93, v88
	v_fma_f32 v112, v52, v40, -v112
	v_fmac_f32_e32 v113, v53, v40
	v_fma_f32 v53, v56, v42, -v114
	v_fmac_f32_e32 v115, v57, v42
	v_fma_f32 v56, v60, v89, -v116
	v_fmac_f32_e32 v117, v61, v89
	s_waitcnt vmcnt(1)
	v_mul_f32_e32 v57, v55, v45
	v_mul_f32_e32 v60, v54, v45
	;; [unrolled: 1-line block ×5, first 2 shown]
	v_fmac_f32_e32 v122, v94, v87
	v_fma_f32 v94, v54, v44, -v57
	v_fmac_f32_e32 v60, v55, v44
	v_fma_f32 v55, v58, v46, -v61
	v_fmac_f32_e32 v114, v59, v46
	v_sub_f32_e32 v58, v48, v53
	v_sub_f32_e32 v54, v112, v56
	;; [unrolled: 1-line block ×4, first 2 shown]
	v_fma_f32 v56, v112, 2.0, -v54
	v_fma_f32 v61, v113, 2.0, -v53
	v_sub_f32_e32 v113, v51, v114
	v_mul_f32_e32 v118, v100, v37
	v_mul_f32_e32 v111, v99, v37
	;; [unrolled: 1-line block ×4, first 2 shown]
	v_fma_f32 v48, v48, 2.0, -v58
	v_fma_f32 v49, v49, 2.0, -v59
	;; [unrolled: 1-line block ×3, first 2 shown]
	v_fma_f32 v52, v99, v36, -v118
	v_fmac_f32_e32 v111, v100, v36
	v_fma_f32 v118, v97, v38, -v119
	v_fmac_f32_e32 v120, v98, v38
	v_fma_f32 v93, v93, v87, -v121
	v_sub_f32_e32 v53, v58, v53
	v_add_f32_e32 v54, v59, v54
	s_waitcnt vmcnt(0)
	v_mul_f32_e32 v116, v63, v92
	v_mul_f32_e32 v123, v62, v92
	v_fma_f32 v57, v62, v91, -v116
	v_fmac_f32_e32 v123, v63, v91
	v_sub_f32_e32 v63, v50, v55
	v_sub_f32_e32 v112, v94, v57
	;; [unrolled: 1-line block ×3, first 2 shown]
	v_fma_f32 v50, v50, 2.0, -v63
	v_fma_f32 v94, v94, 2.0, -v112
	;; [unrolled: 1-line block ×3, first 2 shown]
	v_sub_f32_e32 v55, v48, v56
	v_sub_f32_e32 v56, v49, v61
	;; [unrolled: 1-line block ×4, first 2 shown]
	v_fma_f32 v57, v58, 2.0, -v53
	v_fma_f32 v58, v59, 2.0, -v54
	v_sub_f32_e32 v59, v63, v62
	v_fma_f32 v61, v48, 2.0, -v55
	v_fma_f32 v62, v49, 2.0, -v56
	;; [unrolled: 1-line block ×4, first 2 shown]
	v_sub_f32_e32 v48, v95, v118
	v_sub_f32_e32 v50, v96, v120
	;; [unrolled: 1-line block ×4, first 2 shown]
	v_add_f32_e32 v60, v113, v112
	v_sub_f32_e32 v93, v48, v51
	v_add_f32_e32 v94, v50, v49
	v_fma_f32 v112, v63, 2.0, -v59
	v_fma_f32 v113, v113, 2.0, -v60
	ds_write_b64 v101, v[57:58] offset:2904
	ds_write_b64 v101, v[55:56] offset:5808
	ds_write_b64 v101, v[53:54] offset:8712
	ds_write2_b64 v101, v[61:62], v[99:100] offset1:132
	ds_write_b64 v101, v[112:113] offset:3960
	ds_write_b64 v101, v[97:98] offset:6864
	ds_write_b64 v101, v[59:60] offset:9768
	s_and_saveexec_b64 s[14:15], s[4:5]
	s_cbranch_execz .LBB0_9
; %bb.8:
	v_fma_f32 v54, v50, 2.0, -v94
	v_fma_f32 v53, v48, 2.0, -v93
	;; [unrolled: 1-line block ×6, first 2 shown]
	v_sub_f32_e32 v50, v55, v50
	v_sub_f32_e32 v49, v48, v49
	v_fma_f32 v56, v55, 2.0, -v50
	v_fma_f32 v55, v48, 2.0, -v49
	ds_write_b64 v101, v[55:56] offset:2112
	ds_write_b64 v101, v[53:54] offset:5016
	;; [unrolled: 1-line block ×4, first 2 shown]
.LBB0_9:
	s_or_b64 exec, exec, s[14:15]
	v_mov_b32_e32 v48, s13
	v_addc_co_u32_e64 v56, vcc, 0, v48, s[0:1]
	v_add_co_u32_e32 v48, vcc, 0x2d60, v103
	s_mov_b64 s[0:1], vcc
	v_addc_co_u32_e64 v49, s[0:1], 0, v56, s[0:1]
	s_waitcnt lgkmcnt(0)
	s_barrier
	v_add_co_u32_e32 v50, vcc, 0x2000, v103
	global_load_dwordx2 v[52:53], v[48:49], off offset:1056
	v_addc_co_u32_e32 v51, vcc, 0, v56, vcc
	s_movk_i32 s0, 0x3000
	global_load_dwordx2 v[54:55], v[50:51], off offset:3424
	global_load_dwordx2 v[61:62], v[48:49], off offset:2112
	;; [unrolled: 1-line block ×3, first 2 shown]
	v_add_co_u32_e32 v48, vcc, s0, v103
	v_addc_co_u32_e32 v49, vcc, 0, v56, vcc
	s_movk_i32 s0, 0x4000
	v_add_co_u32_e32 v50, vcc, s0, v103
	v_addc_co_u32_e32 v51, vcc, 0, v56, vcc
	s_movk_i32 s0, 0x5000
	global_load_dwordx2 v[111:112], v[48:49], off offset:3552
	global_load_dwordx2 v[113:114], v[50:51], off offset:512
	;; [unrolled: 1-line block ×5, first 2 shown]
	v_add_co_u32_e32 v48, vcc, s0, v103
	v_addc_co_u32_e32 v49, vcc, 0, v56, vcc
	global_load_dwordx2 v[121:122], v[48:49], off offset:640
	global_load_dwordx2 v[123:124], v[48:49], off offset:1696
	ds_read2_b64 v[48:51], v101 offset1:132
	v_add_u32_e32 v103, 0x800, v101
	v_add_u32_e32 v56, 0x1000, v101
	;; [unrolled: 1-line block ×4, first 2 shown]
	s_mov_b32 s12, 0x3f575c64
	s_mov_b32 s0, 0x3ed4b147
	s_mov_b32 s1, 0xbe11bafb
	s_mov_b32 s13, 0xbf27a4f4
	s_mov_b32 s14, 0xbf75a155
	s_waitcnt vmcnt(10) lgkmcnt(0)
	v_mul_f32_e32 v57, v51, v53
	v_mul_f32_e32 v58, v50, v53
	s_waitcnt vmcnt(9)
	v_mul_f32_e32 v59, v49, v55
	v_mul_f32_e32 v53, v48, v55
	v_fma_f32 v57, v50, v52, -v57
	v_fmac_f32_e32 v58, v51, v52
	v_fma_f32 v52, v48, v54, -v59
	v_fmac_f32_e32 v53, v49, v54
	ds_write2_b64 v101, v[52:53], v[57:58] offset1:132
	ds_read2_b64 v[48:51], v103 offset0:8 offset1:140
	ds_read2_b64 v[52:55], v56 offset0:16 offset1:148
	;; [unrolled: 1-line block ×4, first 2 shown]
	ds_read_b64 v[125:126], v101 offset:10560
	s_waitcnt vmcnt(8) lgkmcnt(4)
	v_mul_f32_e32 v127, v49, v62
	v_mul_f32_e32 v63, v48, v62
	s_waitcnt vmcnt(7)
	v_mul_f32_e32 v131, v51, v100
	v_mul_f32_e32 v128, v50, v100
	s_waitcnt vmcnt(6) lgkmcnt(3)
	v_mul_f32_e32 v132, v53, v112
	v_mul_f32_e32 v100, v52, v112
	s_waitcnt vmcnt(5)
	v_mul_f32_e32 v133, v55, v114
	v_mul_f32_e32 v112, v54, v114
	;; [unrolled: 6-line block ×4, first 2 shown]
	v_fma_f32 v62, v48, v61, -v127
	v_fmac_f32_e32 v63, v49, v61
	s_waitcnt vmcnt(0) lgkmcnt(0)
	v_mul_f32_e32 v48, v126, v124
	v_mul_f32_e32 v49, v125, v124
	v_fma_f32 v127, v50, v99, -v131
	v_fmac_f32_e32 v128, v51, v99
	v_fma_f32 v99, v52, v111, -v132
	v_fmac_f32_e32 v100, v53, v111
	;; [unrolled: 2-line block ×8, first 2 shown]
	ds_write2_b64 v103, v[62:63], v[127:128] offset0:8 offset1:140
	ds_write2_b64 v56, v[99:100], v[111:112] offset0:16 offset1:148
	;; [unrolled: 1-line block ×4, first 2 shown]
	ds_write_b64 v101, v[48:49] offset:10560
	s_waitcnt lgkmcnt(0)
	s_barrier
	ds_read2_b64 v[48:51], v101 offset1:132
	ds_read2_b64 v[52:55], v103 offset0:8 offset1:140
	ds_read2_b64 v[57:60], v56 offset0:16 offset1:148
	;; [unrolled: 1-line block ×4, first 2 shown]
	ds_read_b64 v[61:62], v101 offset:10560
	s_waitcnt lgkmcnt(5)
	v_add_f32_e32 v63, v48, v50
	v_add_f32_e32 v99, v49, v51
	s_waitcnt lgkmcnt(4)
	v_add_f32_e32 v63, v63, v52
	v_add_f32_e32 v99, v99, v53
	v_add_f32_e32 v63, v63, v54
	v_add_f32_e32 v99, v99, v55
	s_waitcnt lgkmcnt(3)
	v_add_f32_e32 v63, v63, v57
	v_add_f32_e32 v99, v99, v58
	;; [unrolled: 5-line block ×4, first 2 shown]
	v_add_f32_e32 v63, v63, v113
	s_waitcnt lgkmcnt(0)
	v_add_f32_e32 v115, v62, v51
	v_sub_f32_e32 v51, v51, v62
	v_add_f32_e32 v100, v99, v114
	v_add_f32_e32 v99, v63, v61
	;; [unrolled: 1-line block ×3, first 2 shown]
	v_sub_f32_e32 v50, v50, v61
	v_mul_f32_e32 v61, 0xbf0a6770, v51
	v_mul_f32_e32 v118, 0xbf68dda4, v51
	;; [unrolled: 1-line block ×5, first 2 shown]
	v_add_f32_e32 v100, v100, v62
	v_mov_b32_e32 v62, v61
	v_mov_b32_e32 v119, v118
	;; [unrolled: 1-line block ×5, first 2 shown]
	v_fmac_f32_e32 v62, 0x3f575c64, v63
	v_fma_f32 v61, v63, s12, -v61
	v_fmac_f32_e32 v119, 0x3ed4b147, v63
	v_fma_f32 v118, v63, s0, -v118
	;; [unrolled: 2-line block ×5, first 2 shown]
	v_add_f32_e32 v62, v48, v62
	v_mul_f32_e32 v116, 0x3f575c64, v115
	v_add_f32_e32 v61, v48, v61
	v_add_f32_e32 v119, v48, v119
	v_mul_f32_e32 v120, 0x3ed4b147, v115
	v_add_f32_e32 v118, v48, v118
	;; [unrolled: 3-line block ×5, first 2 shown]
	v_add_f32_e32 v51, v114, v53
	v_sub_f32_e32 v53, v53, v114
	v_mov_b32_e32 v117, v116
	v_mov_b32_e32 v121, v120
	;; [unrolled: 1-line block ×5, first 2 shown]
	v_mul_f32_e32 v63, 0xbf68dda4, v53
	v_fmac_f32_e32 v117, 0x3f0a6770, v50
	v_fmac_f32_e32 v116, 0xbf0a6770, v50
	;; [unrolled: 1-line block ×10, first 2 shown]
	v_add_f32_e32 v50, v113, v52
	v_sub_f32_e32 v52, v52, v113
	v_mov_b32_e32 v113, v63
	v_fmac_f32_e32 v113, 0x3ed4b147, v50
	v_add_f32_e32 v62, v113, v62
	v_mul_f32_e32 v113, 0x3ed4b147, v51
	v_add_f32_e32 v116, v49, v116
	v_mov_b32_e32 v114, v113
	v_fma_f32 v63, v50, s0, -v63
	v_fmac_f32_e32 v113, 0xbf68dda4, v52
	v_add_f32_e32 v61, v63, v61
	v_add_f32_e32 v63, v113, v116
	v_mul_f32_e32 v113, 0xbf4178ce, v53
	v_add_f32_e32 v117, v49, v117
	v_add_f32_e32 v121, v49, v121
	;; [unrolled: 1-line block ×9, first 2 shown]
	v_mov_b32_e32 v115, v113
	v_fma_f32 v113, v50, s13, -v113
	v_fmac_f32_e32 v114, 0x3f68dda4, v52
	v_fmac_f32_e32 v115, 0xbf27a4f4, v50
	v_mul_f32_e32 v116, 0xbf27a4f4, v51
	v_add_f32_e32 v113, v113, v118
	v_mul_f32_e32 v118, 0x3e903f40, v53
	v_add_f32_e32 v114, v114, v117
	v_add_f32_e32 v115, v115, v119
	v_mov_b32_e32 v117, v116
	v_fmac_f32_e32 v116, 0xbf4178ce, v52
	v_mov_b32_e32 v119, v118
	v_fma_f32 v118, v50, s14, -v118
	v_fmac_f32_e32 v117, 0x3f4178ce, v52
	v_add_f32_e32 v116, v116, v120
	v_fmac_f32_e32 v119, 0xbf75a155, v50
	v_mul_f32_e32 v120, 0xbf75a155, v51
	v_add_f32_e32 v118, v118, v122
	v_mul_f32_e32 v122, 0x3f7d64f0, v53
	v_add_f32_e32 v117, v117, v121
	v_add_f32_e32 v119, v119, v123
	v_mov_b32_e32 v121, v120
	v_fmac_f32_e32 v120, 0x3e903f40, v52
	v_mov_b32_e32 v123, v122
	v_fma_f32 v122, v50, s1, -v122
	v_mul_f32_e32 v53, 0x3f0a6770, v53
	v_fmac_f32_e32 v121, 0xbe903f40, v52
	v_add_f32_e32 v120, v120, v124
	v_fmac_f32_e32 v123, 0xbe11bafb, v50
	v_mul_f32_e32 v124, 0xbe11bafb, v51
	v_add_f32_e32 v122, v122, v126
	v_mov_b32_e32 v126, v53
	v_mul_f32_e32 v51, 0x3f575c64, v51
	v_add_f32_e32 v121, v121, v125
	v_add_f32_e32 v123, v123, v127
	v_mov_b32_e32 v125, v124
	v_fmac_f32_e32 v126, 0x3f575c64, v50
	v_mov_b32_e32 v127, v51
	v_fma_f32 v50, v50, s12, -v53
	v_sub_f32_e32 v53, v55, v112
	v_fmac_f32_e32 v125, 0xbf7d64f0, v52
	v_fmac_f32_e32 v124, 0x3f7d64f0, v52
	;; [unrolled: 1-line block ×3, first 2 shown]
	v_add_f32_e32 v48, v50, v48
	v_fmac_f32_e32 v51, 0x3f0a6770, v52
	v_add_f32_e32 v50, v111, v54
	v_sub_f32_e32 v52, v54, v111
	v_mul_f32_e32 v54, 0xbf7d64f0, v53
	v_add_f32_e32 v49, v51, v49
	v_add_f32_e32 v51, v112, v55
	v_mov_b32_e32 v55, v54
	v_fmac_f32_e32 v55, 0xbe11bafb, v50
	v_add_f32_e32 v55, v55, v62
	v_mul_f32_e32 v62, 0xbe11bafb, v51
	v_mov_b32_e32 v111, v62
	v_fma_f32 v54, v50, s1, -v54
	v_fmac_f32_e32 v62, 0xbf7d64f0, v52
	v_add_f32_e32 v54, v54, v61
	v_add_f32_e32 v61, v62, v63
	v_mul_f32_e32 v62, 0x3e903f40, v53
	v_mov_b32_e32 v63, v62
	v_fma_f32 v62, v50, s14, -v62
	v_fmac_f32_e32 v111, 0x3f7d64f0, v52
	v_fmac_f32_e32 v63, 0xbf75a155, v50
	v_mul_f32_e32 v112, 0xbf75a155, v51
	v_add_f32_e32 v62, v62, v113
	v_mul_f32_e32 v113, 0x3f68dda4, v53
	v_add_f32_e32 v111, v111, v114
	v_add_f32_e32 v63, v63, v115
	v_mov_b32_e32 v114, v112
	v_fmac_f32_e32 v112, 0x3e903f40, v52
	v_mov_b32_e32 v115, v113
	v_fma_f32 v113, v50, s0, -v113
	v_fmac_f32_e32 v114, 0xbe903f40, v52
	v_add_f32_e32 v112, v112, v116
	v_fmac_f32_e32 v115, 0x3ed4b147, v50
	v_mul_f32_e32 v116, 0x3ed4b147, v51
	v_add_f32_e32 v113, v113, v118
	v_mul_f32_e32 v118, 0xbf0a6770, v53
	v_add_f32_e32 v114, v114, v117
	v_add_f32_e32 v115, v115, v119
	v_mov_b32_e32 v117, v116
	v_fmac_f32_e32 v116, 0x3f68dda4, v52
	v_mov_b32_e32 v119, v118
	v_fma_f32 v118, v50, s12, -v118
	v_mul_f32_e32 v53, 0xbf4178ce, v53
	v_fmac_f32_e32 v117, 0xbf68dda4, v52
	v_add_f32_e32 v116, v116, v120
	v_fmac_f32_e32 v119, 0x3f575c64, v50
	v_mul_f32_e32 v120, 0x3f575c64, v51
	v_add_f32_e32 v118, v118, v122
	v_mov_b32_e32 v122, v53
	v_mul_f32_e32 v51, 0xbf27a4f4, v51
	v_add_f32_e32 v117, v117, v121
	v_add_f32_e32 v119, v119, v123
	v_mov_b32_e32 v121, v120
	v_fmac_f32_e32 v122, 0xbf27a4f4, v50
	v_mov_b32_e32 v123, v51
	v_fma_f32 v50, v50, s13, -v53
	v_sub_f32_e32 v53, v58, v98
	v_fmac_f32_e32 v121, 0x3f0a6770, v52
	v_fmac_f32_e32 v120, 0xbf0a6770, v52
	;; [unrolled: 1-line block ×3, first 2 shown]
	v_add_f32_e32 v48, v50, v48
	v_fmac_f32_e32 v51, 0xbf4178ce, v52
	v_add_f32_e32 v50, v97, v57
	v_sub_f32_e32 v52, v57, v97
	v_mul_f32_e32 v57, 0xbf4178ce, v53
	v_add_f32_e32 v49, v51, v49
	v_add_f32_e32 v51, v98, v58
	v_mov_b32_e32 v58, v57
	v_fmac_f32_e32 v58, 0xbf27a4f4, v50
	v_add_f32_e32 v55, v58, v55
	v_mul_f32_e32 v58, 0xbf27a4f4, v51
	v_mov_b32_e32 v97, v58
	v_fma_f32 v57, v50, s13, -v57
	v_fmac_f32_e32 v58, 0xbf4178ce, v52
	v_add_f32_e32 v54, v57, v54
	v_add_f32_e32 v57, v58, v61
	v_mul_f32_e32 v58, 0x3f7d64f0, v53
	v_mov_b32_e32 v61, v58
	v_fmac_f32_e32 v61, 0xbe11bafb, v50
	v_add_f32_e32 v61, v61, v63
	v_mul_f32_e32 v63, 0xbe11bafb, v51
	v_mov_b32_e32 v98, v63
	v_fma_f32 v58, v50, s1, -v58
	v_fmac_f32_e32 v63, 0x3f7d64f0, v52
	v_fmac_f32_e32 v97, 0x3f4178ce, v52
	;; [unrolled: 1-line block ×3, first 2 shown]
	v_add_f32_e32 v58, v58, v62
	v_add_f32_e32 v62, v63, v112
	v_mul_f32_e32 v63, 0xbf0a6770, v53
	v_add_f32_e32 v97, v97, v111
	v_add_f32_e32 v111, v98, v114
	v_mov_b32_e32 v98, v63
	v_fmac_f32_e32 v98, 0x3f575c64, v50
	v_add_f32_e32 v112, v98, v115
	v_mul_f32_e32 v98, 0x3f575c64, v51
	v_mov_b32_e32 v114, v98
	v_fma_f32 v63, v50, s12, -v63
	v_fmac_f32_e32 v98, 0xbf0a6770, v52
	v_add_f32_e32 v63, v63, v113
	v_add_f32_e32 v113, v98, v116
	v_mul_f32_e32 v98, 0xbe903f40, v53
	v_mov_b32_e32 v115, v98
	v_fma_f32 v98, v50, s14, -v98
	v_mul_f32_e32 v53, 0x3f68dda4, v53
	v_add_f32_e32 v126, v126, v130
	v_add_f32_e32 v118, v98, v118
	v_mov_b32_e32 v98, v53
	v_add_f32_e32 v124, v124, v128
	v_add_f32_e32 v122, v122, v126
	v_fmac_f32_e32 v114, 0x3f0a6770, v52
	v_fmac_f32_e32 v115, 0xbf75a155, v50
	v_mul_f32_e32 v116, 0xbf75a155, v51
	v_fmac_f32_e32 v98, 0x3ed4b147, v50
	v_mul_f32_e32 v51, 0x3ed4b147, v51
	v_add_f32_e32 v125, v125, v129
	v_add_f32_e32 v127, v127, v131
	;; [unrolled: 1-line block ×5, first 2 shown]
	v_mov_b32_e32 v117, v116
	v_add_f32_e32 v119, v98, v122
	v_mov_b32_e32 v98, v51
	v_fmac_f32_e32 v51, 0x3f68dda4, v52
	v_add_f32_e32 v124, v96, v60
	v_add_f32_e32 v121, v121, v125
	;; [unrolled: 1-line block ×3, first 2 shown]
	v_fmac_f32_e32 v117, 0x3e903f40, v52
	v_fmac_f32_e32 v116, 0xbe903f40, v52
	;; [unrolled: 1-line block ×3, first 2 shown]
	v_fma_f32 v50, v50, s0, -v53
	v_add_f32_e32 v122, v51, v49
	v_sub_f32_e32 v126, v60, v96
	v_mul_f32_e32 v51, 0xbf75a155, v124
	v_add_f32_e32 v117, v117, v121
	v_add_f32_e32 v116, v116, v120
	;; [unrolled: 1-line block ×5, first 2 shown]
	v_sub_f32_e32 v125, v59, v95
	v_mul_f32_e32 v50, 0xbe903f40, v126
	v_mov_b32_e32 v49, v51
	v_mov_b32_e32 v48, v50
	v_fmac_f32_e32 v49, 0x3e903f40, v125
	v_fma_f32 v50, v123, s14, -v50
	v_mul_f32_e32 v52, 0x3f0a6770, v126
	v_add_f32_e32 v49, v49, v97
	v_add_f32_e32 v97, v50, v54
	v_mov_b32_e32 v50, v52
	v_fma_f32 v52, v123, s12, -v52
	v_mul_f32_e32 v54, 0xbf4178ce, v126
	v_add_f32_e32 v95, v52, v58
	v_mov_b32_e32 v52, v54
	v_fmac_f32_e32 v48, 0xbf75a155, v123
	v_fmac_f32_e32 v51, 0xbe903f40, v125
	v_mul_f32_e32 v53, 0x3f575c64, v124
	v_fmac_f32_e32 v52, 0xbf27a4f4, v123
	v_fma_f32 v54, v123, s13, -v54
	v_mul_f32_e32 v59, 0x3f68dda4, v126
	v_add_f32_e32 v48, v48, v55
	v_add_f32_e32 v98, v51, v57
	v_fmac_f32_e32 v50, 0x3f575c64, v123
	v_mov_b32_e32 v51, v53
	v_fmac_f32_e32 v53, 0x3f0a6770, v125
	v_add_f32_e32 v52, v52, v112
	v_mul_f32_e32 v55, 0xbf27a4f4, v124
	v_add_f32_e32 v54, v54, v63
	v_mov_b32_e32 v57, v59
	v_mul_f32_e32 v60, 0x3ed4b147, v124
	v_mul_f32_e32 v63, 0xbf7d64f0, v126
	;; [unrolled: 1-line block ×3, first 2 shown]
	v_add_f32_e32 v50, v50, v61
	v_add_f32_e32 v96, v53, v62
	v_mov_b32_e32 v53, v55
	v_fmac_f32_e32 v57, 0x3ed4b147, v123
	v_mov_b32_e32 v58, v60
	v_mov_b32_e32 v61, v63
	;; [unrolled: 1-line block ×3, first 2 shown]
	v_fmac_f32_e32 v51, 0xbf0a6770, v125
	v_fmac_f32_e32 v53, 0x3f4178ce, v125
	v_fmac_f32_e32 v55, 0xbf4178ce, v125
	v_add_f32_e32 v57, v57, v115
	v_fmac_f32_e32 v58, 0xbf68dda4, v125
	v_fma_f32 v59, v123, s0, -v59
	v_fmac_f32_e32 v60, 0x3f68dda4, v125
	v_fmac_f32_e32 v61, 0xbe11bafb, v123
	;; [unrolled: 1-line block ×3, first 2 shown]
	v_fma_f32 v63, v123, s1, -v63
	v_fmac_f32_e32 v112, 0xbf7d64f0, v125
	v_add_f32_e32 v51, v51, v111
	v_add_f32_e32 v53, v53, v114
	v_add_f32_e32 v55, v55, v113
	v_add_f32_e32 v58, v58, v117
	v_add_f32_e32 v59, v59, v118
	v_add_f32_e32 v60, v60, v116
	v_add_f32_e32 v61, v61, v119
	v_add_f32_e32 v62, v62, v120
	v_add_f32_e32 v111, v63, v121
	v_add_f32_e32 v112, v112, v122
	s_barrier
	ds_write2_b64 v106, v[99:100], v[48:49] offset1:1
	ds_write2_b64 v106, v[50:51], v[52:53] offset0:2 offset1:3
	ds_write2_b64 v106, v[57:58], v[61:62] offset0:4 offset1:5
	;; [unrolled: 1-line block ×4, first 2 shown]
	ds_write_b64 v106, v[97:98] offset:80
	v_add_u32_e32 v57, 0x1c00, v101
	s_waitcnt lgkmcnt(0)
	s_barrier
	ds_read2_b64 v[52:55], v101 offset1:132
	ds_read2_b64 v[48:51], v103 offset0:8 offset1:228
	ds_read2_b64 v[60:63], v57 offset0:72 offset1:204
	ds_read2_b64 v[56:59], v56 offset0:104 offset1:236
	ds_read_b64 v[99:100], v101 offset:9856
	s_and_saveexec_b64 s[0:1], s[2:3]
	s_cbranch_execz .LBB0_11
; %bb.10:
	ds_read_b64 v[95:96], v101 offset:3168
	ds_read_b64 v[97:98], v101 offset:7040
	;; [unrolled: 1-line block ×3, first 2 shown]
.LBB0_11:
	s_or_b64 exec, exec, s[0:1]
	s_waitcnt lgkmcnt(3)
	v_mul_f32_e32 v103, v1, v51
	v_mul_f32_e32 v1, v1, v50
	v_fmac_f32_e32 v103, v0, v50
	v_fma_f32 v50, v0, v51, -v1
	s_waitcnt lgkmcnt(2)
	v_mul_f32_e32 v51, v3, v61
	v_mul_f32_e32 v0, v3, v60
	v_fmac_f32_e32 v51, v2, v60
	v_fma_f32 v60, v2, v61, -v0
	s_waitcnt lgkmcnt(1)
	v_mul_f32_e32 v61, v5, v57
	v_mul_f32_e32 v0, v5, v56
	v_fmac_f32_e32 v61, v4, v56
	v_fma_f32 v4, v4, v57, -v0
	v_mul_f32_e32 v5, v7, v63
	v_mul_f32_e32 v0, v7, v62
	v_fmac_f32_e32 v5, v6, v62
	v_fma_f32 v6, v6, v63, -v0
	v_mul_f32_e32 v0, v9, v58
	v_mul_f32_e32 v7, v9, v59
	v_fma_f32 v59, v8, v59, -v0
	s_waitcnt lgkmcnt(0)
	v_mul_f32_e32 v62, v11, v100
	v_mul_f32_e32 v0, v11, v99
	;; [unrolled: 1-line block ×3, first 2 shown]
	v_add_f32_e32 v11, v50, v60
	v_fma_f32 v2, v12, v98, -v1
	v_mul_f32_e32 v1, v15, v94
	v_mul_f32_e32 v3, v15, v93
	v_fma_f32 v11, -0.5, v11, v53
	v_fma_f32 v63, v10, v100, -v0
	v_mul_f32_e32 v0, v13, v98
	v_fmac_f32_e32 v1, v14, v93
	v_fma_f32 v3, v14, v94, -v3
	v_sub_f32_e32 v14, v103, v51
	v_mov_b32_e32 v13, v11
	v_add_f32_e32 v15, v61, v5
	v_add_f32_e32 v9, v103, v51
	v_fmac_f32_e32 v13, 0x3f5db3d7, v14
	v_fmac_f32_e32 v11, 0xbf5db3d7, v14
	v_add_f32_e32 v14, v54, v61
	v_fma_f32 v54, -0.5, v15, v54
	v_fmac_f32_e32 v7, v8, v58
	v_fmac_f32_e32 v62, v10, v99
	v_add_f32_e32 v8, v52, v103
	v_fma_f32 v10, -0.5, v9, v52
	v_sub_f32_e32 v15, v4, v6
	v_mov_b32_e32 v52, v54
	v_fmac_f32_e32 v52, 0xbf5db3d7, v15
	v_fmac_f32_e32 v54, 0x3f5db3d7, v15
	v_add_f32_e32 v15, v55, v4
	v_add_f32_e32 v4, v4, v6
	v_fmac_f32_e32 v0, v12, v97
	v_sub_f32_e32 v9, v50, v60
	v_mov_b32_e32 v12, v10
	v_fmac_f32_e32 v55, -0.5, v4
	v_fmac_f32_e32 v12, 0xbf5db3d7, v9
	v_fmac_f32_e32 v10, 0x3f5db3d7, v9
	v_add_f32_e32 v9, v53, v50
	v_sub_f32_e32 v4, v61, v5
	v_mov_b32_e32 v53, v55
	v_fmac_f32_e32 v53, 0x3f5db3d7, v4
	v_fmac_f32_e32 v55, 0xbf5db3d7, v4
	v_add_f32_e32 v4, v48, v7
	v_add_f32_e32 v56, v4, v62
	v_add_f32_e32 v4, v7, v62
	v_fma_f32 v48, -0.5, v4, v48
	v_sub_f32_e32 v4, v59, v63
	v_mov_b32_e32 v58, v48
	v_fmac_f32_e32 v58, 0xbf5db3d7, v4
	v_fmac_f32_e32 v48, 0x3f5db3d7, v4
	v_add_f32_e32 v4, v49, v59
	v_add_f32_e32 v57, v4, v63
	;; [unrolled: 1-line block ×3, first 2 shown]
	v_fmac_f32_e32 v49, -0.5, v4
	v_sub_f32_e32 v4, v7, v62
	v_mov_b32_e32 v59, v49
	v_add_f32_e32 v15, v15, v6
	v_fmac_f32_e32 v59, 0x3f5db3d7, v4
	v_fmac_f32_e32 v49, 0xbf5db3d7, v4
	v_add_f32_e32 v4, v1, v0
	v_add_f32_e32 v6, v3, v2
	v_fma_f32 v4, -0.5, v4, v95
	v_fma_f32 v6, -0.5, v6, v96
	v_add_f32_e32 v8, v8, v51
	v_add_f32_e32 v14, v14, v5
	v_sub_f32_e32 v5, v2, v3
	v_mov_b32_e32 v50, v4
	v_sub_f32_e32 v7, v0, v1
	v_mov_b32_e32 v51, v6
	v_add_f32_e32 v9, v9, v60
	v_fmac_f32_e32 v50, 0x3f5db3d7, v5
	v_fmac_f32_e32 v51, 0xbf5db3d7, v7
	s_barrier
	ds_write2_b64 v107, v[8:9], v[12:13] offset1:11
	ds_write_b64 v107, v[10:11] offset:176
	ds_write2_b64 v108, v[14:15], v[52:53] offset1:11
	ds_write_b64 v108, v[54:55] offset:176
	;; [unrolled: 2-line block ×3, first 2 shown]
	s_and_saveexec_b64 s[0:1], s[2:3]
	s_cbranch_execz .LBB0_13
; %bb.12:
	v_add_f32_e32 v0, v95, v0
	v_mul_f32_e32 v8, 0x3f5db3d7, v5
	v_mul_f32_e32 v5, 0x3f5db3d7, v7
	v_add_f32_e32 v2, v2, v96
	v_add_f32_e32 v1, v1, v0
	v_mad_legacy_u16 v0, v104, 33, v105
	v_add_f32_e32 v5, v5, v6
	v_sub_f32_e32 v4, v4, v8
	v_add_f32_e32 v2, v3, v2
	v_lshlrev_b32_e32 v0, 3, v0
	ds_write2_b64 v0, v[1:2], v[4:5] offset1:11
	ds_write_b64 v0, v[50:51] offset:176
.LBB0_13:
	s_or_b64 exec, exec, s[0:1]
	s_waitcnt lgkmcnt(0)
	s_barrier
	ds_read2_b64 v[0:3], v101 offset1:132
	v_add_u32_e32 v56, 0x800, v101
	ds_read2_b64 v[4:7], v56 offset0:8 offset1:140
	v_add_u32_e32 v8, 0x1000, v101
	ds_read2_b64 v[8:11], v8 offset0:16 offset1:148
	v_add_u32_e32 v12, 0x1800, v101
	s_waitcnt lgkmcnt(2)
	v_mul_f32_e32 v58, v29, v3
	ds_read2_b64 v[12:15], v12 offset0:24 offset1:156
	v_fmac_f32_e32 v58, v28, v2
	v_mul_f32_e32 v2, v29, v2
	v_fma_f32 v28, v28, v3, -v2
	s_waitcnt lgkmcnt(2)
	v_mul_f32_e32 v29, v31, v5
	v_mul_f32_e32 v2, v31, v4
	v_add_u32_e32 v57, 0x2000, v101
	v_fmac_f32_e32 v29, v30, v4
	v_fma_f32 v4, v30, v5, -v2
	v_mul_f32_e32 v5, v25, v7
	v_mul_f32_e32 v2, v25, v6
	ds_read2_b64 v[52:55], v57 offset0:32 offset1:164
	ds_read_b64 v[48:49], v101 offset:10560
	v_fmac_f32_e32 v5, v24, v6
	v_fma_f32 v6, v24, v7, -v2
	s_waitcnt lgkmcnt(3)
	v_mul_f32_e32 v7, v27, v9
	v_mul_f32_e32 v2, v27, v8
	v_fmac_f32_e32 v7, v26, v8
	v_fma_f32 v8, v26, v9, -v2
	v_mul_f32_e32 v9, v21, v11
	v_mul_f32_e32 v2, v21, v10
	v_fmac_f32_e32 v9, v20, v10
	v_fma_f32 v10, v20, v11, -v2
	s_waitcnt lgkmcnt(2)
	v_mul_f32_e32 v11, v23, v13
	v_mul_f32_e32 v2, v23, v12
	v_add_f32_e32 v3, v1, v28
	v_fmac_f32_e32 v11, v22, v12
	v_fma_f32 v12, v22, v13, -v2
	v_mul_f32_e32 v13, v17, v15
	v_mul_f32_e32 v2, v17, v14
	v_add_f32_e32 v3, v3, v4
	v_fmac_f32_e32 v13, v16, v14
	v_fma_f32 v14, v16, v15, -v2
	s_waitcnt lgkmcnt(1)
	v_mul_f32_e32 v2, v19, v52
	v_add_f32_e32 v3, v3, v6
	v_mul_f32_e32 v15, v19, v53
	v_fma_f32 v16, v18, v53, -v2
	v_mul_f32_e32 v2, v33, v54
	v_add_f32_e32 v3, v3, v8
	v_fmac_f32_e32 v15, v18, v52
	v_fma_f32 v18, v32, v55, -v2
	s_waitcnt lgkmcnt(0)
	v_mul_f32_e32 v2, v35, v48
	v_add_f32_e32 v3, v3, v10
	v_fma_f32 v20, v34, v49, -v2
	v_add_f32_e32 v2, v0, v58
	v_add_f32_e32 v3, v3, v12
	;; [unrolled: 1-line block ×8, first 2 shown]
	v_mul_f32_e32 v17, v33, v55
	v_mul_f32_e32 v19, v35, v49
	v_add_f32_e32 v2, v2, v9
	v_add_f32_e32 v3, v3, v20
	;; [unrolled: 1-line block ×3, first 2 shown]
	v_sub_f32_e32 v20, v28, v20
	v_fmac_f32_e32 v17, v32, v54
	v_fmac_f32_e32 v19, v34, v48
	v_add_f32_e32 v2, v2, v11
	v_mul_f32_e32 v23, 0xbf0a6770, v20
	v_mul_f32_e32 v27, 0xbf68dda4, v20
	;; [unrolled: 1-line block ×5, first 2 shown]
	v_add_f32_e32 v2, v2, v13
	v_add_f32_e32 v21, v58, v19
	s_mov_b32 s2, 0x3f575c64
	v_mov_b32_e32 v24, v23
	s_mov_b32 s0, 0x3ed4b147
	v_mov_b32_e32 v28, v27
	;; [unrolled: 2-line block ×5, first 2 shown]
	v_add_f32_e32 v2, v2, v15
	v_fmac_f32_e32 v24, 0x3f575c64, v21
	v_fma_f32 v23, v21, s2, -v23
	v_fmac_f32_e32 v28, 0x3ed4b147, v21
	v_fma_f32 v27, v21, s0, -v27
	;; [unrolled: 2-line block ×5, first 2 shown]
	v_add_f32_e32 v2, v2, v17
	v_add_f32_e32 v24, v0, v24
	v_mul_f32_e32 v25, 0x3f575c64, v22
	v_add_f32_e32 v23, v0, v23
	v_add_f32_e32 v28, v0, v28
	v_mul_f32_e32 v30, 0x3ed4b147, v22
	;; [unrolled: 3-line block ×5, first 2 shown]
	v_add_f32_e32 v0, v0, v20
	v_add_f32_e32 v20, v4, v18
	v_sub_f32_e32 v4, v4, v18
	v_add_f32_e32 v2, v2, v19
	v_sub_f32_e32 v19, v58, v19
	v_mov_b32_e32 v26, v25
	v_mov_b32_e32 v31, v30
	v_mov_b32_e32 v35, v34
	v_mov_b32_e32 v53, v52
	v_mov_b32_e32 v55, v22
	v_mul_f32_e32 v18, 0xbf68dda4, v4
	v_fmac_f32_e32 v26, 0x3f0a6770, v19
	v_fmac_f32_e32 v25, 0xbf0a6770, v19
	;; [unrolled: 1-line block ×10, first 2 shown]
	v_add_f32_e32 v19, v29, v17
	v_mov_b32_e32 v21, v18
	v_add_f32_e32 v26, v1, v26
	v_add_f32_e32 v25, v1, v25
	;; [unrolled: 1-line block ×10, first 2 shown]
	v_sub_f32_e32 v17, v29, v17
	v_fmac_f32_e32 v21, 0x3ed4b147, v19
	v_mul_f32_e32 v22, 0x3ed4b147, v20
	v_fma_f32 v18, v19, s0, -v18
	v_add_f32_e32 v21, v21, v24
	v_mov_b32_e32 v24, v22
	v_add_f32_e32 v18, v18, v23
	v_fmac_f32_e32 v22, 0xbf68dda4, v17
	v_mul_f32_e32 v23, 0xbf4178ce, v4
	v_fmac_f32_e32 v24, 0x3f68dda4, v17
	v_add_f32_e32 v22, v22, v25
	v_mov_b32_e32 v25, v23
	v_fma_f32 v23, v19, s3, -v23
	v_add_f32_e32 v24, v24, v26
	v_fmac_f32_e32 v25, 0xbf27a4f4, v19
	v_mul_f32_e32 v26, 0xbf27a4f4, v20
	v_add_f32_e32 v23, v23, v27
	v_mul_f32_e32 v27, 0x3e903f40, v4
	v_add_f32_e32 v25, v25, v28
	v_mov_b32_e32 v28, v26
	v_fmac_f32_e32 v26, 0xbf4178ce, v17
	v_mov_b32_e32 v29, v27
	v_fma_f32 v27, v19, s12, -v27
	v_fmac_f32_e32 v28, 0x3f4178ce, v17
	v_add_f32_e32 v26, v26, v30
	v_fmac_f32_e32 v29, 0xbf75a155, v19
	v_mul_f32_e32 v30, 0xbf75a155, v20
	v_add_f32_e32 v27, v27, v32
	v_mul_f32_e32 v32, 0x3f7d64f0, v4
	v_add_f32_e32 v28, v28, v31
	v_add_f32_e32 v29, v29, v33
	v_mov_b32_e32 v31, v30
	v_fmac_f32_e32 v30, 0x3e903f40, v17
	v_mov_b32_e32 v33, v32
	v_fmac_f32_e32 v31, 0xbe903f40, v17
	v_add_f32_e32 v30, v30, v34
	v_fmac_f32_e32 v33, 0xbe11bafb, v19
	v_mul_f32_e32 v34, 0xbe11bafb, v20
	v_mul_f32_e32 v20, 0x3f575c64, v20
	v_add_f32_e32 v31, v31, v35
	v_add_f32_e32 v33, v33, v49
	v_mov_b32_e32 v35, v34
	v_fma_f32 v32, v19, s1, -v32
	v_mul_f32_e32 v4, 0x3f0a6770, v4
	v_mov_b32_e32 v49, v20
	v_fmac_f32_e32 v35, 0xbf7d64f0, v17
	v_add_f32_e32 v32, v32, v48
	v_fmac_f32_e32 v34, 0x3f7d64f0, v17
	v_mov_b32_e32 v48, v4
	v_fmac_f32_e32 v49, 0xbf0a6770, v17
	v_fma_f32 v4, v19, s2, -v4
	v_fmac_f32_e32 v20, 0x3f0a6770, v17
	v_add_f32_e32 v17, v6, v16
	v_sub_f32_e32 v6, v6, v16
	v_fmac_f32_e32 v48, 0x3f575c64, v19
	v_add_f32_e32 v0, v4, v0
	v_add_f32_e32 v4, v5, v15
	v_sub_f32_e32 v5, v5, v15
	v_mul_f32_e32 v15, 0xbf7d64f0, v6
	v_mul_f32_e32 v19, 0xbe11bafb, v17
	v_add_f32_e32 v1, v20, v1
	v_mov_b32_e32 v16, v15
	v_mov_b32_e32 v20, v19
	v_fma_f32 v15, v4, s1, -v15
	v_fmac_f32_e32 v19, 0xbf7d64f0, v5
	v_fmac_f32_e32 v16, 0xbe11bafb, v4
	v_add_f32_e32 v15, v15, v18
	v_add_f32_e32 v18, v19, v22
	v_mul_f32_e32 v19, 0x3e903f40, v6
	v_add_f32_e32 v16, v16, v21
	v_mov_b32_e32 v21, v19
	v_fma_f32 v19, v4, s12, -v19
	v_fmac_f32_e32 v21, 0xbf75a155, v4
	v_add_f32_e32 v19, v19, v23
	v_mul_f32_e32 v23, 0x3f68dda4, v6
	v_fmac_f32_e32 v20, 0x3f7d64f0, v5
	v_add_f32_e32 v21, v21, v25
	v_mul_f32_e32 v22, 0xbf75a155, v17
	v_mov_b32_e32 v25, v23
	v_fma_f32 v23, v4, s0, -v23
	v_add_f32_e32 v20, v20, v24
	v_mov_b32_e32 v24, v22
	v_fmac_f32_e32 v22, 0x3e903f40, v5
	v_fmac_f32_e32 v25, 0x3ed4b147, v4
	v_add_f32_e32 v23, v23, v27
	v_mul_f32_e32 v27, 0xbf0a6770, v6
	v_fmac_f32_e32 v24, 0xbe903f40, v5
	v_add_f32_e32 v22, v22, v26
	v_add_f32_e32 v25, v25, v29
	v_mul_f32_e32 v26, 0x3ed4b147, v17
	v_mov_b32_e32 v29, v27
	v_fma_f32 v27, v4, s2, -v27
	v_mul_f32_e32 v6, 0xbf4178ce, v6
	v_add_f32_e32 v24, v24, v28
	v_mov_b32_e32 v28, v26
	v_fmac_f32_e32 v26, 0x3f68dda4, v5
	v_add_f32_e32 v27, v27, v32
	v_mov_b32_e32 v32, v6
	v_fmac_f32_e32 v28, 0xbf68dda4, v5
	v_add_f32_e32 v26, v26, v30
	v_fmac_f32_e32 v29, 0x3f575c64, v4
	v_mul_f32_e32 v30, 0x3f575c64, v17
	v_fmac_f32_e32 v32, 0xbf27a4f4, v4
	v_mul_f32_e32 v17, 0xbf27a4f4, v17
	v_fma_f32 v4, v4, s3, -v6
	v_add_f32_e32 v28, v28, v31
	v_add_f32_e32 v29, v29, v33
	v_mov_b32_e32 v31, v30
	v_mov_b32_e32 v33, v17
	v_add_f32_e32 v0, v4, v0
	v_add_f32_e32 v4, v7, v13
	v_sub_f32_e32 v6, v7, v13
	v_sub_f32_e32 v7, v8, v14
	v_fmac_f32_e32 v31, 0x3f0a6770, v5
	v_fmac_f32_e32 v30, 0xbf0a6770, v5
	;; [unrolled: 1-line block ×4, first 2 shown]
	v_add_f32_e32 v5, v8, v14
	v_mul_f32_e32 v8, 0xbf4178ce, v7
	v_mov_b32_e32 v13, v8
	v_fma_f32 v8, v4, s3, -v8
	v_add_f32_e32 v8, v8, v15
	v_mul_f32_e32 v15, 0x3f7d64f0, v7
	v_add_f32_e32 v1, v17, v1
	v_fmac_f32_e32 v13, 0xbf27a4f4, v4
	v_mul_f32_e32 v14, 0xbf27a4f4, v5
	v_mov_b32_e32 v17, v15
	v_add_f32_e32 v13, v13, v16
	v_mov_b32_e32 v16, v14
	v_fmac_f32_e32 v14, 0xbf4178ce, v6
	v_fmac_f32_e32 v17, 0xbe11bafb, v4
	;; [unrolled: 1-line block ×3, first 2 shown]
	v_add_f32_e32 v14, v14, v18
	v_add_f32_e32 v18, v17, v21
	v_mul_f32_e32 v17, 0xbe11bafb, v5
	v_add_f32_e32 v16, v16, v20
	v_mov_b32_e32 v20, v17
	v_fma_f32 v15, v4, s1, -v15
	v_fmac_f32_e32 v17, 0x3f7d64f0, v6
	v_add_f32_e32 v15, v15, v19
	v_add_f32_e32 v19, v17, v22
	v_mul_f32_e32 v17, 0xbf0a6770, v7
	v_mov_b32_e32 v21, v17
	v_fma_f32 v17, v4, s2, -v17
	v_fmac_f32_e32 v21, 0x3f575c64, v4
	v_add_f32_e32 v23, v17, v23
	v_mul_f32_e32 v17, 0xbe903f40, v7
	v_fmac_f32_e32 v20, 0xbf7d64f0, v6
	v_add_f32_e32 v21, v21, v25
	v_mul_f32_e32 v22, 0x3f575c64, v5
	v_mov_b32_e32 v25, v17
	v_fma_f32 v17, v4, s12, -v17
	v_mul_f32_e32 v7, 0x3f68dda4, v7
	v_add_f32_e32 v48, v48, v54
	v_add_f32_e32 v20, v20, v24
	v_mov_b32_e32 v24, v22
	v_fmac_f32_e32 v22, 0xbf0a6770, v6
	v_add_f32_e32 v27, v17, v27
	v_mov_b32_e32 v17, v7
	v_add_f32_e32 v34, v34, v52
	v_add_f32_e32 v32, v32, v48
	v_fmac_f32_e32 v24, 0x3f0a6770, v6
	v_add_f32_e32 v22, v22, v26
	v_fmac_f32_e32 v25, 0xbf75a155, v4
	v_mul_f32_e32 v26, 0xbf75a155, v5
	v_fmac_f32_e32 v17, 0x3ed4b147, v4
	v_mul_f32_e32 v5, 0x3ed4b147, v5
	v_add_f32_e32 v35, v35, v53
	v_add_f32_e32 v49, v49, v55
	;; [unrolled: 1-line block ×5, first 2 shown]
	v_mov_b32_e32 v28, v26
	v_add_f32_e32 v29, v17, v32
	v_mov_b32_e32 v17, v5
	v_fmac_f32_e32 v5, 0x3f68dda4, v6
	v_add_f32_e32 v34, v10, v12
	v_add_f32_e32 v31, v31, v35
	;; [unrolled: 1-line block ×3, first 2 shown]
	v_fmac_f32_e32 v28, 0x3e903f40, v6
	v_fmac_f32_e32 v26, 0xbe903f40, v6
	;; [unrolled: 1-line block ×3, first 2 shown]
	v_fma_f32 v4, v4, s0, -v7
	v_add_f32_e32 v32, v5, v1
	v_sub_f32_e32 v12, v10, v12
	v_mul_f32_e32 v5, 0xbf75a155, v34
	v_add_f32_e32 v28, v28, v31
	v_add_f32_e32 v26, v26, v30
	;; [unrolled: 1-line block ×5, first 2 shown]
	v_sub_f32_e32 v35, v9, v11
	v_mul_f32_e32 v4, 0xbe903f40, v12
	v_mov_b32_e32 v1, v5
	v_mov_b32_e32 v0, v4
	v_fmac_f32_e32 v1, 0x3e903f40, v35
	v_fma_f32 v4, v33, s12, -v4
	v_mul_f32_e32 v6, 0x3f0a6770, v12
	v_add_f32_e32 v1, v1, v16
	v_add_f32_e32 v16, v4, v8
	v_mov_b32_e32 v4, v6
	v_fmac_f32_e32 v5, 0xbe903f40, v35
	v_fmac_f32_e32 v4, 0x3f575c64, v33
	v_mul_f32_e32 v7, 0x3f575c64, v34
	v_fma_f32 v6, v33, s2, -v6
	v_mul_f32_e32 v8, 0xbf4178ce, v12
	v_add_f32_e32 v17, v5, v14
	v_add_f32_e32 v4, v4, v18
	v_mov_b32_e32 v5, v7
	v_add_f32_e32 v18, v6, v15
	v_fmac_f32_e32 v7, 0x3f0a6770, v35
	v_mov_b32_e32 v6, v8
	v_mul_f32_e32 v9, 0xbf27a4f4, v34
	v_fmac_f32_e32 v0, 0xbf75a155, v33
	v_fmac_f32_e32 v5, 0xbf0a6770, v35
	v_add_f32_e32 v19, v7, v19
	v_fmac_f32_e32 v6, 0xbf27a4f4, v33
	v_mov_b32_e32 v7, v9
	v_fma_f32 v8, v33, s3, -v8
	v_fmac_f32_e32 v9, 0xbf4178ce, v35
	v_mul_f32_e32 v10, 0x3f68dda4, v12
	v_mul_f32_e32 v11, 0x3ed4b147, v34
	;; [unrolled: 1-line block ×4, first 2 shown]
	v_add_f32_e32 v0, v0, v13
	v_add_f32_e32 v5, v5, v20
	;; [unrolled: 1-line block ×5, first 2 shown]
	v_mov_b32_e32 v8, v10
	v_mov_b32_e32 v9, v11
	;; [unrolled: 1-line block ×4, first 2 shown]
	v_fmac_f32_e32 v7, 0x3f4178ce, v35
	v_fmac_f32_e32 v8, 0x3ed4b147, v33
	;; [unrolled: 1-line block ×3, first 2 shown]
	v_fma_f32 v10, v33, s0, -v10
	v_fmac_f32_e32 v11, 0x3f68dda4, v35
	v_fmac_f32_e32 v12, 0xbe11bafb, v33
	;; [unrolled: 1-line block ×3, first 2 shown]
	v_fma_f32 v14, v33, s1, -v14
	v_fmac_f32_e32 v15, 0xbf7d64f0, v35
	v_add_f32_e32 v7, v7, v24
	v_add_f32_e32 v8, v8, v25
	;; [unrolled: 1-line block ×9, first 2 shown]
	s_barrier
	ds_write2_b64 v110, v[2:3], v[0:1] offset1:33
	ds_write2_b64 v110, v[4:5], v[6:7] offset0:66 offset1:99
	ds_write2_b64 v110, v[8:9], v[12:13] offset0:132 offset1:165
	;; [unrolled: 1-line block ×3, first 2 shown]
	v_add_u32_e32 v0, 0x800, v110
	v_add_u32_e32 v4, 0x1400, v101
	ds_write2_b64 v0, v[20:21], v[18:19] offset0:8 offset1:41
	ds_write_b64 v110, v[16:17] offset:2640
	s_waitcnt lgkmcnt(0)
	s_barrier
	ds_read2_b64 v[0:3], v101 offset1:132
	ds_read2_b64 v[12:15], v56 offset0:107 offset1:239
	ds_read2_b64 v[8:11], v4 offset0:86 offset1:218
	;; [unrolled: 1-line block ×3, first 2 shown]
	s_and_saveexec_b64 s[0:1], s[4:5]
	s_cbranch_execz .LBB0_15
; %bb.14:
	ds_read_b64 v[20:21], v101 offset:2112
	ds_read_b64 v[18:19], v101 offset:5016
	;; [unrolled: 1-line block ×4, first 2 shown]
.LBB0_15:
	s_or_b64 exec, exec, s[0:1]
	s_waitcnt lgkmcnt(2)
	v_mul_f32_e32 v22, v41, v13
	v_fmac_f32_e32 v22, v40, v12
	v_mul_f32_e32 v12, v41, v12
	v_fma_f32 v12, v40, v13, -v12
	s_waitcnt lgkmcnt(1)
	v_mul_f32_e32 v13, v43, v9
	v_fmac_f32_e32 v13, v42, v8
	v_mul_f32_e32 v8, v43, v8
	v_fma_f32 v8, v42, v9, -v8
	;; [unrolled: 5-line block ×3, first 2 shown]
	v_mul_f32_e32 v23, v45, v15
	v_mul_f32_e32 v5, v45, v14
	v_fmac_f32_e32 v23, v44, v14
	v_fma_f32 v14, v44, v15, -v5
	v_mul_f32_e32 v15, v47, v11
	v_mul_f32_e32 v5, v47, v10
	v_fmac_f32_e32 v15, v46, v10
	v_fma_f32 v10, v46, v11, -v5
	v_mul_f32_e32 v5, v92, v6
	v_mul_f32_e32 v11, v92, v7
	v_fma_f32 v24, v91, v7, -v5
	v_sub_f32_e32 v13, v0, v13
	v_sub_f32_e32 v25, v1, v8
	;; [unrolled: 1-line block ×4, first 2 shown]
	v_fmac_f32_e32 v11, v91, v6
	v_fma_f32 v5, v0, 2.0, -v13
	v_fma_f32 v6, v1, 2.0, -v25
	;; [unrolled: 1-line block ×4, first 2 shown]
	v_sub_f32_e32 v0, v5, v0
	v_sub_f32_e32 v1, v6, v1
	v_fma_f32 v4, v5, 2.0, -v0
	v_fma_f32 v5, v6, 2.0, -v1
	v_add_f32_e32 v6, v13, v8
	v_sub_f32_e32 v22, v3, v10
	v_sub_f32_e32 v24, v14, v24
	v_fma_f32 v8, v13, 2.0, -v6
	v_sub_f32_e32 v15, v2, v15
	v_fma_f32 v12, v3, 2.0, -v22
	;; [unrolled: 2-line block ×4, first 2 shown]
	v_fma_f32 v2, v23, 2.0, -v13
	v_sub_f32_e32 v3, v12, v3
	v_fma_f32 v9, v25, 2.0, -v7
	v_sub_f32_e32 v2, v10, v2
	v_fma_f32 v11, v12, 2.0, -v3
	v_add_f32_e32 v12, v15, v24
	v_sub_f32_e32 v13, v22, v13
	v_fma_f32 v10, v10, 2.0, -v2
	v_fma_f32 v14, v15, 2.0, -v12
	;; [unrolled: 1-line block ×3, first 2 shown]
	ds_write_b64 v101, v[8:9] offset:2904
	ds_write_b64 v101, v[0:1] offset:5808
	;; [unrolled: 1-line block ×3, first 2 shown]
	ds_write2_b64 v101, v[4:5], v[10:11] offset1:132
	ds_write_b64 v101, v[14:15] offset:3960
	ds_write_b64 v101, v[2:3] offset:6864
	;; [unrolled: 1-line block ×3, first 2 shown]
	s_and_saveexec_b64 s[0:1], s[4:5]
	s_cbranch_execz .LBB0_17
; %bb.16:
	v_mul_f32_e32 v0, v39, v16
	v_fma_f32 v0, v38, v17, -v0
	v_sub_f32_e32 v4, v21, v0
	v_mul_f32_e32 v6, v37, v19
	v_mul_f32_e32 v0, v88, v51
	v_fmac_f32_e32 v6, v36, v18
	v_fmac_f32_e32 v0, v87, v50
	v_sub_f32_e32 v8, v6, v0
	v_mul_f32_e32 v0, v39, v17
	v_fmac_f32_e32 v0, v38, v16
	v_sub_f32_e32 v9, v20, v0
	v_mul_f32_e32 v0, v37, v18
	v_fma_f32 v5, v36, v19, -v0
	v_mul_f32_e32 v0, v88, v50
	v_fma_f32 v0, v87, v51, -v0
	v_sub_f32_e32 v1, v4, v8
	v_sub_f32_e32 v7, v5, v0
	v_fma_f32 v3, v4, 2.0, -v1
	v_fma_f32 v4, v21, 2.0, -v4
	;; [unrolled: 1-line block ×3, first 2 shown]
	v_add_f32_e32 v0, v9, v7
	v_sub_f32_e32 v5, v4, v5
	v_fma_f32 v2, v9, 2.0, -v0
	v_fma_f32 v7, v4, 2.0, -v5
	;; [unrolled: 1-line block ×4, first 2 shown]
	v_sub_f32_e32 v4, v9, v4
	v_fma_f32 v6, v9, 2.0, -v4
	ds_write_b64 v101, v[6:7] offset:2112
	ds_write_b64 v101, v[2:3] offset:5016
	;; [unrolled: 1-line block ×4, first 2 shown]
.LBB0_17:
	s_or_b64 exec, exec, s[0:1]
	s_waitcnt lgkmcnt(0)
	s_barrier
	ds_read2_b64 v[0:3], v101 offset1:132
	v_mad_u64_u32 v[4:5], s[0:1], s10, v72, 0
	s_mov_b32 s0, 0x3a88d0c0
	s_mov_b32 s1, 0x3f469147
	s_waitcnt lgkmcnt(0)
	v_mul_f32_e32 v6, v86, v1
	v_fmac_f32_e32 v6, v85, v0
	v_cvt_f64_f32_e32 v[6:7], v6
	v_mul_f32_e32 v0, v86, v0
	v_fma_f32 v0, v85, v1, -v0
	v_cvt_f64_f32_e32 v[0:1], v0
	v_mul_f64 v[6:7], v[6:7], s[0:1]
	v_mad_u64_u32 v[8:9], s[2:3], s8, v102, 0
	v_mul_f64 v[0:1], v[0:1], s[0:1]
	v_mad_u64_u32 v[10:11], s[2:3], s11, v72, v[5:6]
	v_mov_b32_e32 v5, v9
	v_mad_u64_u32 v[11:12], s[2:3], s9, v102, v[5:6]
	v_mov_b32_e32 v5, v10
	v_cvt_f32_f64_e32 v6, v[6:7]
	v_cvt_f32_f64_e32 v7, v[0:1]
	v_lshlrev_b64 v[0:1], 3, v[4:5]
	v_mul_f32_e32 v4, v84, v3
	v_fmac_f32_e32 v4, v83, v2
	v_mul_f32_e32 v2, v84, v2
	v_fma_f32 v2, v83, v3, -v2
	v_mov_b32_e32 v9, v11
	v_mov_b32_e32 v10, s7
	v_cvt_f64_f32_e32 v[2:3], v2
	v_add_co_u32_e32 v11, vcc, s6, v0
	v_addc_co_u32_e32 v12, vcc, v10, v1, vcc
	v_lshlrev_b64 v[0:1], 3, v[8:9]
	v_mul_f64 v[8:9], v[2:3], s[0:1]
	v_add_co_u32_e32 v10, vcc, v11, v0
	v_add_u32_e32 v0, 0x800, v101
	v_addc_co_u32_e32 v11, vcc, v12, v1, vcc
	ds_read2_b64 v[0:3], v0 offset0:8 offset1:140
	v_cvt_f64_f32_e32 v[4:5], v4
	global_store_dwordx2 v[10:11], v[6:7], off
	s_mul_i32 s2, s9, 0x420
	s_mul_hi_u32 s3, s8, 0x420
	s_waitcnt lgkmcnt(0)
	v_mul_f32_e32 v6, v80, v1
	v_fmac_f32_e32 v6, v79, v0
	v_mul_f32_e32 v0, v80, v0
	v_fma_f32 v0, v79, v1, -v0
	v_mul_f64 v[4:5], v[4:5], s[0:1]
	v_cvt_f64_f32_e32 v[0:1], v0
	v_cvt_f64_f32_e32 v[6:7], v6
	s_add_i32 s2, s3, s2
	s_mul_i32 s3, s8, 0x420
	v_mul_f64 v[0:1], v[0:1], s[0:1]
	v_mul_f64 v[6:7], v[6:7], s[0:1]
	v_mov_b32_e32 v12, s2
	v_cvt_f32_f64_e32 v4, v[4:5]
	v_cvt_f32_f64_e32 v5, v[8:9]
	v_mov_b32_e32 v9, s2
	v_add_co_u32_e32 v8, vcc, s3, v10
	v_addc_co_u32_e32 v9, vcc, v11, v9, vcc
	global_store_dwordx2 v[8:9], v[4:5], off
	v_cvt_f32_f64_e32 v5, v[0:1]
	v_mul_f32_e32 v0, v76, v3
	v_fmac_f32_e32 v0, v75, v2
	v_cvt_f32_f64_e32 v4, v[6:7]
	v_cvt_f64_f32_e32 v[6:7], v0
	v_mul_f32_e32 v0, v76, v2
	v_fma_f32 v0, v75, v3, -v0
	v_cvt_f64_f32_e32 v[10:11], v0
	v_add_u32_e32 v0, 0x1000, v101
	ds_read2_b64 v[0:3], v0 offset0:16 offset1:148
	v_add_co_u32_e32 v8, vcc, s3, v8
	v_addc_co_u32_e32 v9, vcc, v9, v12, vcc
	global_store_dwordx2 v[8:9], v[4:5], off
	v_mul_f64 v[4:5], v[6:7], s[0:1]
	v_mul_f64 v[6:7], v[10:11], s[0:1]
	s_waitcnt lgkmcnt(0)
	v_mul_f32_e32 v10, v82, v1
	v_fmac_f32_e32 v10, v81, v0
	v_mul_f32_e32 v0, v82, v0
	v_fma_f32 v0, v81, v1, -v0
	v_cvt_f64_f32_e32 v[0:1], v0
	v_cvt_f64_f32_e32 v[10:11], v10
	v_cvt_f32_f64_e32 v4, v[4:5]
	v_cvt_f32_f64_e32 v5, v[6:7]
	v_mul_f64 v[0:1], v[0:1], s[0:1]
	v_mul_f64 v[6:7], v[10:11], s[0:1]
	v_mov_b32_e32 v10, s2
	v_add_co_u32_e32 v8, vcc, s3, v8
	v_addc_co_u32_e32 v9, vcc, v9, v10, vcc
	global_store_dwordx2 v[8:9], v[4:5], off
	v_cvt_f32_f64_e32 v5, v[0:1]
	v_mul_f32_e32 v0, v78, v3
	v_fmac_f32_e32 v0, v77, v2
	v_cvt_f32_f64_e32 v4, v[6:7]
	v_cvt_f64_f32_e32 v[6:7], v0
	v_mul_f32_e32 v0, v78, v2
	v_fma_f32 v0, v77, v3, -v0
	v_cvt_f64_f32_e32 v[10:11], v0
	v_add_u32_e32 v0, 0x1800, v101
	ds_read2_b64 v[0:3], v0 offset0:24 offset1:156
	v_add_co_u32_e32 v8, vcc, s3, v8
	v_addc_co_u32_e32 v9, vcc, v9, v12, vcc
	global_store_dwordx2 v[8:9], v[4:5], off
	v_mul_f64 v[4:5], v[6:7], s[0:1]
	v_mul_f64 v[6:7], v[10:11], s[0:1]
	s_waitcnt lgkmcnt(0)
	v_mul_f32_e32 v10, v74, v1
	v_fmac_f32_e32 v10, v73, v0
	v_mul_f32_e32 v0, v74, v0
	v_fma_f32 v0, v73, v1, -v0
	v_cvt_f64_f32_e32 v[0:1], v0
	v_cvt_f64_f32_e32 v[10:11], v10
	v_cvt_f32_f64_e32 v4, v[4:5]
	v_cvt_f32_f64_e32 v5, v[6:7]
	v_mul_f64 v[0:1], v[0:1], s[0:1]
	v_mul_f64 v[6:7], v[10:11], s[0:1]
	;; [unrolled: 30-line block ×3, first 2 shown]
	v_mov_b32_e32 v10, s2
	v_add_co_u32_e32 v8, vcc, s3, v8
	v_addc_co_u32_e32 v9, vcc, v9, v10, vcc
	global_store_dwordx2 v[8:9], v[4:5], off
	v_cvt_f32_f64_e32 v5, v[0:1]
	v_mul_f32_e32 v0, v67, v3
	v_fmac_f32_e32 v0, v66, v2
	v_mul_f32_e32 v2, v67, v2
	v_fma_f32 v2, v66, v3, -v2
	v_cvt_f32_f64_e32 v4, v[6:7]
	v_cvt_f64_f32_e32 v[0:1], v0
	v_cvt_f64_f32_e32 v[2:3], v2
	ds_read_b64 v[6:7], v101 offset:10560
	v_add_co_u32_e32 v8, vcc, s3, v8
	v_addc_co_u32_e32 v9, vcc, v9, v10, vcc
	v_mul_f64 v[0:1], v[0:1], s[0:1]
	v_mul_f64 v[2:3], v[2:3], s[0:1]
	global_store_dwordx2 v[8:9], v[4:5], off
	s_waitcnt lgkmcnt(0)
	v_mul_f32_e32 v4, v65, v7
	v_fmac_f32_e32 v4, v64, v6
	v_mul_f32_e32 v6, v65, v6
	v_fma_f32 v6, v64, v7, -v6
	v_cvt_f64_f32_e32 v[4:5], v4
	v_cvt_f64_f32_e32 v[6:7], v6
	v_cvt_f32_f64_e32 v0, v[0:1]
	v_cvt_f32_f64_e32 v1, v[2:3]
	v_mul_f64 v[2:3], v[4:5], s[0:1]
	v_mul_f64 v[4:5], v[6:7], s[0:1]
	v_mov_b32_e32 v7, s2
	v_add_co_u32_e32 v6, vcc, s3, v8
	v_addc_co_u32_e32 v7, vcc, v9, v7, vcc
	global_store_dwordx2 v[6:7], v[0:1], off
	v_cvt_f32_f64_e32 v0, v[2:3]
	v_cvt_f32_f64_e32 v1, v[4:5]
	v_mov_b32_e32 v3, s2
	v_add_co_u32_e32 v2, vcc, s3, v6
	v_addc_co_u32_e32 v3, vcc, v7, v3, vcc
	global_store_dwordx2 v[2:3], v[0:1], off
.LBB0_18:
	s_endpgm
	.section	.rodata,"a",@progbits
	.p2align	6, 0x0
	.amdhsa_kernel bluestein_single_fwd_len1452_dim1_sp_op_CI_CI
		.amdhsa_group_segment_fixed_size 11616
		.amdhsa_private_segment_fixed_size 0
		.amdhsa_kernarg_size 104
		.amdhsa_user_sgpr_count 6
		.amdhsa_user_sgpr_private_segment_buffer 1
		.amdhsa_user_sgpr_dispatch_ptr 0
		.amdhsa_user_sgpr_queue_ptr 0
		.amdhsa_user_sgpr_kernarg_segment_ptr 1
		.amdhsa_user_sgpr_dispatch_id 0
		.amdhsa_user_sgpr_flat_scratch_init 0
		.amdhsa_user_sgpr_private_segment_size 0
		.amdhsa_uses_dynamic_stack 0
		.amdhsa_system_sgpr_private_segment_wavefront_offset 0
		.amdhsa_system_sgpr_workgroup_id_x 1
		.amdhsa_system_sgpr_workgroup_id_y 0
		.amdhsa_system_sgpr_workgroup_id_z 0
		.amdhsa_system_sgpr_workgroup_info 0
		.amdhsa_system_vgpr_workitem_id 0
		.amdhsa_next_free_vgpr 138
		.amdhsa_next_free_sgpr 20
		.amdhsa_reserve_vcc 1
		.amdhsa_reserve_flat_scratch 0
		.amdhsa_float_round_mode_32 0
		.amdhsa_float_round_mode_16_64 0
		.amdhsa_float_denorm_mode_32 3
		.amdhsa_float_denorm_mode_16_64 3
		.amdhsa_dx10_clamp 1
		.amdhsa_ieee_mode 1
		.amdhsa_fp16_overflow 0
		.amdhsa_exception_fp_ieee_invalid_op 0
		.amdhsa_exception_fp_denorm_src 0
		.amdhsa_exception_fp_ieee_div_zero 0
		.amdhsa_exception_fp_ieee_overflow 0
		.amdhsa_exception_fp_ieee_underflow 0
		.amdhsa_exception_fp_ieee_inexact 0
		.amdhsa_exception_int_div_zero 0
	.end_amdhsa_kernel
	.text
.Lfunc_end0:
	.size	bluestein_single_fwd_len1452_dim1_sp_op_CI_CI, .Lfunc_end0-bluestein_single_fwd_len1452_dim1_sp_op_CI_CI
                                        ; -- End function
	.section	.AMDGPU.csdata,"",@progbits
; Kernel info:
; codeLenInByte = 14544
; NumSgprs: 24
; NumVgprs: 138
; ScratchSize: 0
; MemoryBound: 0
; FloatMode: 240
; IeeeMode: 1
; LDSByteSize: 11616 bytes/workgroup (compile time only)
; SGPRBlocks: 2
; VGPRBlocks: 34
; NumSGPRsForWavesPerEU: 24
; NumVGPRsForWavesPerEU: 138
; Occupancy: 1
; WaveLimiterHint : 1
; COMPUTE_PGM_RSRC2:SCRATCH_EN: 0
; COMPUTE_PGM_RSRC2:USER_SGPR: 6
; COMPUTE_PGM_RSRC2:TRAP_HANDLER: 0
; COMPUTE_PGM_RSRC2:TGID_X_EN: 1
; COMPUTE_PGM_RSRC2:TGID_Y_EN: 0
; COMPUTE_PGM_RSRC2:TGID_Z_EN: 0
; COMPUTE_PGM_RSRC2:TIDIG_COMP_CNT: 0
	.type	__hip_cuid_98af894d2ef20005,@object ; @__hip_cuid_98af894d2ef20005
	.section	.bss,"aw",@nobits
	.globl	__hip_cuid_98af894d2ef20005
__hip_cuid_98af894d2ef20005:
	.byte	0                               ; 0x0
	.size	__hip_cuid_98af894d2ef20005, 1

	.ident	"AMD clang version 19.0.0git (https://github.com/RadeonOpenCompute/llvm-project roc-6.4.0 25133 c7fe45cf4b819c5991fe208aaa96edf142730f1d)"
	.section	".note.GNU-stack","",@progbits
	.addrsig
	.addrsig_sym __hip_cuid_98af894d2ef20005
	.amdgpu_metadata
---
amdhsa.kernels:
  - .args:
      - .actual_access:  read_only
        .address_space:  global
        .offset:         0
        .size:           8
        .value_kind:     global_buffer
      - .actual_access:  read_only
        .address_space:  global
        .offset:         8
        .size:           8
        .value_kind:     global_buffer
      - .actual_access:  read_only
        .address_space:  global
        .offset:         16
        .size:           8
        .value_kind:     global_buffer
      - .actual_access:  read_only
        .address_space:  global
        .offset:         24
        .size:           8
        .value_kind:     global_buffer
      - .actual_access:  read_only
        .address_space:  global
        .offset:         32
        .size:           8
        .value_kind:     global_buffer
      - .offset:         40
        .size:           8
        .value_kind:     by_value
      - .address_space:  global
        .offset:         48
        .size:           8
        .value_kind:     global_buffer
      - .address_space:  global
        .offset:         56
        .size:           8
        .value_kind:     global_buffer
      - .address_space:  global
        .offset:         64
        .size:           8
        .value_kind:     global_buffer
      - .address_space:  global
        .offset:         72
        .size:           8
        .value_kind:     global_buffer
      - .offset:         80
        .size:           4
        .value_kind:     by_value
      - .address_space:  global
        .offset:         88
        .size:           8
        .value_kind:     global_buffer
      - .address_space:  global
        .offset:         96
        .size:           8
        .value_kind:     global_buffer
    .group_segment_fixed_size: 11616
    .kernarg_segment_align: 8
    .kernarg_segment_size: 104
    .language:       OpenCL C
    .language_version:
      - 2
      - 0
    .max_flat_workgroup_size: 132
    .name:           bluestein_single_fwd_len1452_dim1_sp_op_CI_CI
    .private_segment_fixed_size: 0
    .sgpr_count:     24
    .sgpr_spill_count: 0
    .symbol:         bluestein_single_fwd_len1452_dim1_sp_op_CI_CI.kd
    .uniform_work_group_size: 1
    .uses_dynamic_stack: false
    .vgpr_count:     138
    .vgpr_spill_count: 0
    .wavefront_size: 64
amdhsa.target:   amdgcn-amd-amdhsa--gfx906
amdhsa.version:
  - 1
  - 2
...

	.end_amdgpu_metadata
